;; amdgpu-corpus repo=zjin-lcf/HeCBench kind=compiled arch=gfx906 opt=O3
	.amdgcn_target "amdgcn-amd-amdhsa--gfx906"
	.amdhsa_code_object_version 6
	.section	.text._Z10moeSoftmaxILi256EEvPKfPKbPfi,"axG",@progbits,_Z10moeSoftmaxILi256EEvPKfPKbPfi,comdat
	.protected	_Z10moeSoftmaxILi256EEvPKfPKbPfi ; -- Begin function _Z10moeSoftmaxILi256EEvPKfPKbPfi
	.globl	_Z10moeSoftmaxILi256EEvPKfPKbPfi
	.p2align	8
	.type	_Z10moeSoftmaxILi256EEvPKfPKbPfi,@function
_Z10moeSoftmaxILi256EEvPKfPKbPfi:       ; @_Z10moeSoftmaxILi256EEvPKfPKbPfi
; %bb.0:
	s_load_dwordx2 s[2:3], s[4:5], 0x8
	s_waitcnt lgkmcnt(0)
	s_cmp_eq_u64 s[2:3], 0
	s_cselect_b64 s[0:1], -1, 0
	s_and_b64 vcc, exec, s[0:1]
	s_cbranch_vccnz .LBB0_2
; %bb.1:
	v_mov_b32_e32 v1, s6
	global_load_ubyte v1, v1, s[2:3]
	s_waitcnt vmcnt(0)
	v_and_b32_e32 v1, 1, v1
	v_cmp_eq_u32_e32 vcc, 1, v1
	s_xor_b64 s[0:1], vcc, -1
.LBB0_2:
	s_andn2_b64 vcc, exec, s[0:1]
	s_cbranch_vccnz .LBB0_26
; %bb.3:
	s_load_dword s16, s[4:5], 0x18
	s_load_dwordx2 s[10:11], s[4:5], 0x0
	v_mov_b32_e32 v6, 0xff7fffff
	s_waitcnt lgkmcnt(0)
	s_mul_i32 s2, s16, s6
	v_add_u32_e32 v1, s2, v0
	v_cmp_gt_i32_e64 s[0:1], s16, v0
	v_ashrrev_i32_e32 v2, 31, v1
	s_and_saveexec_b64 s[2:3], s[0:1]
	s_cbranch_execz .LBB0_7
; %bb.4:
	v_lshlrev_b64 v[3:4], 2, v[1:2]
	v_mov_b32_e32 v5, s11
	v_add_co_u32_e32 v3, vcc, s10, v3
	v_addc_co_u32_e32 v4, vcc, v5, v4, vcc
	v_mov_b32_e32 v6, 0xff7fffff
	s_mov_b64 s[6:7], 0
	v_mov_b32_e32 v5, v0
.LBB0_5:                                ; =>This Inner Loop Header: Depth=1
	global_load_dword v7, v[3:4], off
	v_add_co_u32_e32 v3, vcc, 0x400, v3
	v_add_u32_e32 v5, 0x100, v5
	v_addc_co_u32_e32 v4, vcc, 0, v4, vcc
	v_max_f32_e32 v6, v6, v6
	v_cmp_le_i32_e32 vcc, s16, v5
	s_or_b64 s[6:7], vcc, s[6:7]
	s_waitcnt vmcnt(0)
	v_max_f32_e32 v7, v7, v7
	v_max_f32_e32 v6, v7, v6
	s_andn2_b64 exec, exec, s[6:7]
	s_cbranch_execnz .LBB0_5
; %bb.6:
	s_or_b64 exec, exec, s[6:7]
.LBB0_7:
	s_or_b64 exec, exec, s[2:3]
	v_mbcnt_lo_u32_b32 v3, -1, 0
	v_mbcnt_hi_u32_b32 v5, -1, v3
	v_cmp_eq_u32_e64 s[2:3], 0, v5
	v_mov_b32_dpp v3, v6 quad_perm:[1,0,3,2] row_mask:0xf bank_mask:0xf bound_ctrl:1
	v_cmp_gt_f32_e32 vcc, v6, v3
	v_cndmask_b32_e32 v3, v3, v6, vcc
	v_lshrrev_b32_e32 v8, 4, v0
	s_nop 0
	v_mov_b32_dpp v4, v3 quad_perm:[2,3,0,1] row_mask:0xf bank_mask:0xf bound_ctrl:1
	v_cmp_gt_f32_e32 vcc, v3, v4
	v_cndmask_b32_e32 v3, v4, v3, vcc
	s_nop 1
	v_mov_b32_dpp v4, v3 row_ror:4 row_mask:0xf bank_mask:0xf bound_ctrl:1
	v_cmp_gt_f32_e32 vcc, v3, v4
	v_cndmask_b32_e32 v3, v4, v3, vcc
	s_nop 1
	v_mov_b32_dpp v4, v3 row_ror:8 row_mask:0xf bank_mask:0xf bound_ctrl:1
	v_cmp_gt_f32_e32 vcc, v3, v4
	v_cndmask_b32_e32 v3, v4, v3, vcc
	s_nop 1
	v_mov_b32_dpp v4, v3 row_bcast:15 row_mask:0xf bank_mask:0xf bound_ctrl:1
	v_cmp_gt_f32_e32 vcc, v3, v4
	v_cndmask_b32_e32 v3, v4, v3, vcc
	s_nop 1
	v_mov_b32_dpp v4, v3 row_bcast:31 row_mask:0xf bank_mask:0xf bound_ctrl:1
	v_cmp_gt_f32_e32 vcc, v3, v4
	v_cndmask_b32_e32 v3, v4, v3, vcc
	v_lshlrev_b32_e32 v4, 2, v5
	v_or_b32_e32 v9, 0xfc, v4
	ds_bpermute_b32 v3, v9, v3
	s_and_saveexec_b64 s[6:7], s[2:3]
	s_cbranch_execz .LBB0_9
; %bb.8:
	v_and_b32_e32 v6, 60, v8
	s_waitcnt lgkmcnt(0)
	ds_write_b32 v6, v3
.LBB0_9:
	s_or_b64 exec, exec, s[6:7]
	v_cmp_gt_u32_e64 s[6:7], 64, v0
	v_and_b32_e32 v7, 3, v5
	v_or_b32_e32 v6, 8, v4
	s_waitcnt lgkmcnt(0)
	s_barrier
	s_and_saveexec_b64 s[8:9], s[6:7]
	s_cbranch_execz .LBB0_11
; %bb.10:
	v_lshlrev_b32_e32 v3, 2, v7
	ds_read_b32 v3, v3
	v_cmp_ne_u32_e32 vcc, 3, v7
	v_addc_co_u32_e32 v4, vcc, 0, v5, vcc
	v_lshlrev_b32_e32 v4, 2, v4
	s_waitcnt lgkmcnt(0)
	ds_bpermute_b32 v4, v4, v3
	s_waitcnt lgkmcnt(0)
	v_cmp_lt_f32_e32 vcc, v3, v4
	v_cndmask_b32_e32 v3, v3, v4, vcc
	ds_bpermute_b32 v4, v6, v3
	s_waitcnt lgkmcnt(0)
	v_cmp_lt_f32_e32 vcc, v3, v4
	v_cndmask_b32_e32 v3, v3, v4, vcc
.LBB0_11:
	s_or_b64 exec, exec, s[8:9]
	v_cmp_eq_u32_e64 s[8:9], 0, v0
	s_and_saveexec_b64 s[12:13], s[8:9]
; %bb.12:
	v_mov_b32_e32 v4, 0
	ds_write_b32 v4, v3 offset:20
; %bb.13:
	s_or_b64 exec, exec, s[12:13]
	v_mov_b32_e32 v10, 0
	s_waitcnt lgkmcnt(0)
	s_barrier
	s_and_saveexec_b64 s[12:13], s[0:1]
	s_cbranch_execz .LBB0_17
; %bb.14:
	v_mov_b32_e32 v10, 0
	ds_read_b32 v11, v10 offset:20
	v_lshlrev_b64 v[3:4], 2, v[1:2]
	v_mov_b32_e32 v12, s11
	v_add_co_u32_e32 v3, vcc, s10, v3
	v_addc_co_u32_e32 v4, vcc, v12, v4, vcc
	s_mov_b64 s[14:15], 0
	s_mov_b32 s17, 0x3fb8aa3b
	s_mov_b32 s18, 0xc2ce8ed0
	;; [unrolled: 1-line block ×3, first 2 shown]
	v_mov_b32_e32 v12, 0x7f800000
	v_mov_b32_e32 v13, v0
.LBB0_15:                               ; =>This Inner Loop Header: Depth=1
	global_load_dword v14, v[3:4], off
	v_add_co_u32_e32 v3, vcc, 0x400, v3
	v_add_u32_e32 v13, 0x100, v13
	v_addc_co_u32_e32 v4, vcc, 0, v4, vcc
	v_cmp_le_i32_e32 vcc, s16, v13
	s_or_b64 s[14:15], vcc, s[14:15]
	s_waitcnt vmcnt(0) lgkmcnt(0)
	v_sub_f32_e32 v14, v14, v11
	v_mul_f32_e32 v15, 0x3fb8aa3b, v14
	v_fma_f32 v16, v14, s17, -v15
	v_rndne_f32_e32 v17, v15
	v_fmac_f32_e32 v16, 0x32a5705f, v14
	v_sub_f32_e32 v15, v15, v17
	v_add_f32_e32 v15, v15, v16
	v_cvt_i32_f32_e32 v17, v17
	v_exp_f32_e32 v15, v15
	v_cmp_ngt_f32_e32 vcc, s18, v14
	v_ldexp_f32 v15, v15, v17
	v_cndmask_b32_e32 v15, 0, v15, vcc
	v_cmp_nlt_f32_e32 vcc, s19, v14
	v_cndmask_b32_e32 v14, v12, v15, vcc
	v_add_f32_e32 v10, v10, v14
	s_andn2_b64 exec, exec, s[14:15]
	s_cbranch_execnz .LBB0_15
; %bb.16:
	s_or_b64 exec, exec, s[14:15]
.LBB0_17:
	s_or_b64 exec, exec, s[12:13]
	v_add_f32_dpp v3, v10, v10 quad_perm:[1,0,3,2] row_mask:0xf bank_mask:0xf bound_ctrl:1
	s_nop 1
	v_add_f32_dpp v3, v3, v3 quad_perm:[2,3,0,1] row_mask:0xf bank_mask:0xf bound_ctrl:1
	s_nop 1
	v_add_f32_dpp v3, v3, v3 row_ror:4 row_mask:0xf bank_mask:0xf bound_ctrl:1
	s_nop 1
	v_add_f32_dpp v3, v3, v3 row_ror:8 row_mask:0xf bank_mask:0xf bound_ctrl:1
	s_nop 1
	v_add_f32_dpp v3, v3, v3 row_bcast:15 row_mask:0xf bank_mask:0xf bound_ctrl:1
	s_nop 1
	v_add_f32_dpp v3, v3, v3 row_bcast:31 row_mask:0xf bank_mask:0xf bound_ctrl:1
	ds_bpermute_b32 v3, v9, v3
	s_and_saveexec_b64 s[12:13], s[2:3]
	s_cbranch_execz .LBB0_19
; %bb.18:
	v_and_b32_e32 v4, 60, v8
	s_waitcnt lgkmcnt(0)
	ds_write_b32 v4, v3
.LBB0_19:
	s_or_b64 exec, exec, s[12:13]
	s_waitcnt lgkmcnt(0)
	s_barrier
	s_and_saveexec_b64 s[2:3], s[6:7]
	s_cbranch_execz .LBB0_21
; %bb.20:
	v_lshlrev_b32_e32 v3, 2, v7
	ds_read_b32 v3, v3
	v_cmp_ne_u32_e32 vcc, 3, v7
	v_addc_co_u32_e32 v4, vcc, 0, v5, vcc
	v_lshlrev_b32_e32 v4, 2, v4
	s_waitcnt lgkmcnt(0)
	ds_bpermute_b32 v4, v4, v3
	s_waitcnt lgkmcnt(0)
	v_add_f32_e32 v3, v3, v4
	ds_bpermute_b32 v4, v6, v3
	s_waitcnt lgkmcnt(0)
	v_add_f32_e32 v3, v3, v4
.LBB0_21:
	s_or_b64 exec, exec, s[2:3]
	s_and_saveexec_b64 s[2:3], s[8:9]
	s_cbranch_execz .LBB0_23
; %bb.22:
	v_div_scale_f32 v4, s[6:7], v3, v3, 1.0
	v_div_scale_f32 v5, vcc, 1.0, v3, 1.0
	v_rcp_f32_e32 v6, v4
	v_fma_f32 v7, -v4, v6, 1.0
	v_fmac_f32_e32 v6, v7, v6
	v_mul_f32_e32 v7, v5, v6
	v_fma_f32 v8, -v4, v7, v5
	v_fmac_f32_e32 v7, v8, v6
	v_fma_f32 v4, -v4, v7, v5
	v_div_fmas_f32 v4, v4, v6, v7
	v_div_fixup_f32 v3, v4, v3, 1.0
	v_mov_b32_e32 v4, 0
	ds_write_b32 v4, v3 offset:16
.LBB0_23:
	s_or_b64 exec, exec, s[2:3]
	s_waitcnt lgkmcnt(0)
	s_barrier
	s_and_saveexec_b64 s[2:3], s[0:1]
	s_cbranch_execz .LBB0_26
; %bb.24:
	s_load_dwordx2 s[0:1], s[4:5], 0x10
	v_mov_b32_e32 v3, 0
	v_lshlrev_b64 v[5:6], 2, v[1:2]
	ds_read_b64 v[3:4], v3 offset:16
	v_mov_b32_e32 v2, s11
	v_add_co_u32_e32 v1, vcc, s10, v5
	v_addc_co_u32_e32 v2, vcc, v2, v6, vcc
	s_waitcnt lgkmcnt(0)
	v_mov_b32_e32 v7, s1
	v_add_co_u32_e32 v5, vcc, s0, v5
	v_addc_co_u32_e32 v6, vcc, v7, v6, vcc
	s_mov_b64 s[0:1], 0
	s_mov_b32 s2, 0x3fb8aa3b
	s_mov_b32 s3, 0xc2ce8ed0
	;; [unrolled: 1-line block ×3, first 2 shown]
	v_mov_b32_e32 v7, 0x7f800000
.LBB0_25:                               ; =>This Inner Loop Header: Depth=1
	global_load_dword v8, v[1:2], off
	v_add_co_u32_e32 v1, vcc, 0x400, v1
	v_add_u32_e32 v0, 0x100, v0
	v_addc_co_u32_e32 v2, vcc, 0, v2, vcc
	v_cmp_le_i32_e32 vcc, s16, v0
	s_or_b64 s[0:1], vcc, s[0:1]
	s_waitcnt vmcnt(0)
	v_sub_f32_e32 v8, v8, v4
	v_mul_f32_e32 v9, 0x3fb8aa3b, v8
	v_fma_f32 v10, v8, s2, -v9
	v_rndne_f32_e32 v11, v9
	v_fmac_f32_e32 v10, 0x32a5705f, v8
	v_sub_f32_e32 v9, v9, v11
	v_add_f32_e32 v9, v9, v10
	v_cvt_i32_f32_e32 v11, v11
	v_exp_f32_e32 v9, v9
	v_cmp_ngt_f32_e32 vcc, s3, v8
	v_ldexp_f32 v9, v9, v11
	v_cndmask_b32_e32 v9, 0, v9, vcc
	v_cmp_nlt_f32_e32 vcc, s4, v8
	v_cndmask_b32_e32 v8, v7, v9, vcc
	v_mul_f32_e32 v8, v3, v8
	global_store_dword v[5:6], v8, off
	v_add_co_u32_e32 v5, vcc, 0x400, v5
	v_addc_co_u32_e32 v6, vcc, 0, v6, vcc
	s_andn2_b64 exec, exec, s[0:1]
	s_cbranch_execnz .LBB0_25
.LBB0_26:
	s_endpgm
	.section	.rodata,"a",@progbits
	.p2align	6, 0x0
	.amdhsa_kernel _Z10moeSoftmaxILi256EEvPKfPKbPfi
		.amdhsa_group_segment_fixed_size 24
		.amdhsa_private_segment_fixed_size 0
		.amdhsa_kernarg_size 28
		.amdhsa_user_sgpr_count 6
		.amdhsa_user_sgpr_private_segment_buffer 1
		.amdhsa_user_sgpr_dispatch_ptr 0
		.amdhsa_user_sgpr_queue_ptr 0
		.amdhsa_user_sgpr_kernarg_segment_ptr 1
		.amdhsa_user_sgpr_dispatch_id 0
		.amdhsa_user_sgpr_flat_scratch_init 0
		.amdhsa_user_sgpr_private_segment_size 0
		.amdhsa_uses_dynamic_stack 0
		.amdhsa_system_sgpr_private_segment_wavefront_offset 0
		.amdhsa_system_sgpr_workgroup_id_x 1
		.amdhsa_system_sgpr_workgroup_id_y 0
		.amdhsa_system_sgpr_workgroup_id_z 0
		.amdhsa_system_sgpr_workgroup_info 0
		.amdhsa_system_vgpr_workitem_id 0
		.amdhsa_next_free_vgpr 18
		.amdhsa_next_free_sgpr 20
		.amdhsa_reserve_vcc 1
		.amdhsa_reserve_flat_scratch 0
		.amdhsa_float_round_mode_32 0
		.amdhsa_float_round_mode_16_64 0
		.amdhsa_float_denorm_mode_32 3
		.amdhsa_float_denorm_mode_16_64 3
		.amdhsa_dx10_clamp 1
		.amdhsa_ieee_mode 1
		.amdhsa_fp16_overflow 0
		.amdhsa_exception_fp_ieee_invalid_op 0
		.amdhsa_exception_fp_denorm_src 0
		.amdhsa_exception_fp_ieee_div_zero 0
		.amdhsa_exception_fp_ieee_overflow 0
		.amdhsa_exception_fp_ieee_underflow 0
		.amdhsa_exception_fp_ieee_inexact 0
		.amdhsa_exception_int_div_zero 0
	.end_amdhsa_kernel
	.section	.text._Z10moeSoftmaxILi256EEvPKfPKbPfi,"axG",@progbits,_Z10moeSoftmaxILi256EEvPKfPKbPfi,comdat
.Lfunc_end0:
	.size	_Z10moeSoftmaxILi256EEvPKfPKbPfi, .Lfunc_end0-_Z10moeSoftmaxILi256EEvPKfPKbPfi
                                        ; -- End function
	.set _Z10moeSoftmaxILi256EEvPKfPKbPfi.num_vgpr, 18
	.set _Z10moeSoftmaxILi256EEvPKfPKbPfi.num_agpr, 0
	.set _Z10moeSoftmaxILi256EEvPKfPKbPfi.numbered_sgpr, 20
	.set _Z10moeSoftmaxILi256EEvPKfPKbPfi.num_named_barrier, 0
	.set _Z10moeSoftmaxILi256EEvPKfPKbPfi.private_seg_size, 0
	.set _Z10moeSoftmaxILi256EEvPKfPKbPfi.uses_vcc, 1
	.set _Z10moeSoftmaxILi256EEvPKfPKbPfi.uses_flat_scratch, 0
	.set _Z10moeSoftmaxILi256EEvPKfPKbPfi.has_dyn_sized_stack, 0
	.set _Z10moeSoftmaxILi256EEvPKfPKbPfi.has_recursion, 0
	.set _Z10moeSoftmaxILi256EEvPKfPKbPfi.has_indirect_call, 0
	.section	.AMDGPU.csdata,"",@progbits
; Kernel info:
; codeLenInByte = 1308
; TotalNumSgprs: 24
; NumVgprs: 18
; ScratchSize: 0
; MemoryBound: 0
; FloatMode: 240
; IeeeMode: 1
; LDSByteSize: 24 bytes/workgroup (compile time only)
; SGPRBlocks: 2
; VGPRBlocks: 4
; NumSGPRsForWavesPerEU: 24
; NumVGPRsForWavesPerEU: 18
; Occupancy: 10
; WaveLimiterHint : 0
; COMPUTE_PGM_RSRC2:SCRATCH_EN: 0
; COMPUTE_PGM_RSRC2:USER_SGPR: 6
; COMPUTE_PGM_RSRC2:TRAP_HANDLER: 0
; COMPUTE_PGM_RSRC2:TGID_X_EN: 1
; COMPUTE_PGM_RSRC2:TGID_Y_EN: 0
; COMPUTE_PGM_RSRC2:TGID_Z_EN: 0
; COMPUTE_PGM_RSRC2:TIDIG_COMP_CNT: 0
	.text
	.p2align	2                               ; -- Begin function __ockl_fprintf_append_string_n
	.type	__ockl_fprintf_append_string_n,@function
__ockl_fprintf_append_string_n:         ; @__ockl_fprintf_append_string_n
; %bb.0:
	s_waitcnt vmcnt(0) expcnt(0) lgkmcnt(0)
	v_or_b32_e32 v2, 2, v0
	v_cmp_eq_u32_e32 vcc, 0, v6
	s_getpc_b64 s[4:5]
	s_add_u32 s4, s4, .str.3@rel32@lo+4
	s_addc_u32 s5, s5, .str.3@rel32@hi+12
	s_mov_b32 s20, 0
	v_cndmask_b32_e32 v36, v2, v0, vcc
	s_mov_b64 s[6:7], 0
	s_cmp_lg_u64 s[4:5], 0
	v_mbcnt_lo_u32_b32 v37, -1, 0
	s_cbranch_scc0 .LBB1_112
; %bb.1:
	s_load_dwordx2 s[10:11], s[8:9], 0x50
	s_getpc_b64 s[4:5]
	s_add_u32 s4, s4, .str.3@rel32@lo+4
	s_addc_u32 s5, s5, .str.3@rel32@hi+12
	v_and_b32_e32 v0, -3, v36
	v_mov_b32_e32 v31, s5
	v_mov_b32_e32 v11, v1
	v_and_b32_e32 v38, 2, v36
	v_mov_b32_e32 v3, 0
	v_mbcnt_hi_u32_b32 v39, -1, v37
	v_mov_b32_e32 v30, s4
	s_movk_i32 s21, 0x1e0
	v_mov_b32_e32 v8, 2
	v_mov_b32_e32 v9, 1
	v_mov_b32_e32 v10, v0
	s_branch .LBB1_3
.LBB1_2:                                ;   in Loop: Header=BB1_3 Depth=1
	s_or_b64 exec, exec, s[14:15]
	v_sub_co_u32_e32 v4, vcc, v4, v32
	v_subb_co_u32_e32 v5, vcc, v5, v33, vcc
	v_cmp_eq_u64_e32 vcc, 0, v[4:5]
	s_or_b64 s[6:7], vcc, s[6:7]
	v_add_co_u32_e32 v30, vcc, v30, v32
	v_addc_co_u32_e32 v31, vcc, v31, v33, vcc
	s_andn2_b64 exec, exec, s[6:7]
	s_cbranch_execz .LBB1_85
.LBB1_3:                                ; =>This Loop Header: Depth=1
                                        ;     Child Loop BB1_6 Depth 2
                                        ;     Child Loop BB1_14 Depth 2
	;; [unrolled: 1-line block ×11, first 2 shown]
	v_cmp_gt_u64_e32 vcc, 56, v[4:5]
	v_add_co_u32_e64 v16, s[4:5], 8, v30
	v_cndmask_b32_e32 v33, 0, v5, vcc
	v_cndmask_b32_e32 v32, 56, v4, vcc
	v_cmp_gt_u64_e32 vcc, 8, v[4:5]
	v_addc_co_u32_e64 v17, s[4:5], 0, v31, s[4:5]
	s_and_saveexec_b64 s[4:5], vcc
	s_xor_b64 s[4:5], exec, s[4:5]
	s_cbranch_execz .LBB1_9
; %bb.4:                                ;   in Loop: Header=BB1_3 Depth=1
	s_waitcnt vmcnt(0)
	v_mov_b32_e32 v12, 0
	v_cmp_ne_u64_e32 vcc, 0, v[4:5]
	v_mov_b32_e32 v13, 0
	s_and_saveexec_b64 s[12:13], vcc
	s_cbranch_execz .LBB1_8
; %bb.5:                                ;   in Loop: Header=BB1_3 Depth=1
	v_lshlrev_b64 v[6:7], 3, v[32:33]
	v_mov_b32_e32 v12, 0
	v_mov_b32_e32 v14, v30
	s_mov_b64 s[14:15], 0
	v_mov_b32_e32 v13, 0
	v_mov_b32_e32 v15, v31
	s_mov_b64 s[16:17], 0
.LBB1_6:                                ;   Parent Loop BB1_3 Depth=1
                                        ; =>  This Inner Loop Header: Depth=2
	global_load_ubyte v0, v[14:15], off
	v_mov_b32_e32 v17, s20
	v_add_co_u32_e32 v14, vcc, 1, v14
	v_addc_co_u32_e32 v15, vcc, 0, v15, vcc
	s_waitcnt vmcnt(0)
	v_and_b32_e32 v16, 0xffff, v0
	v_lshlrev_b64 v[16:17], s16, v[16:17]
	s_add_u32 s16, s16, 8
	s_addc_u32 s17, s17, 0
	v_cmp_eq_u32_e32 vcc, s16, v6
	v_or_b32_e32 v13, v17, v13
	s_or_b64 s[14:15], vcc, s[14:15]
	v_or_b32_e32 v12, v16, v12
	s_andn2_b64 exec, exec, s[14:15]
	s_cbranch_execnz .LBB1_6
; %bb.7:                                ;   in Loop: Header=BB1_3 Depth=1
	s_or_b64 exec, exec, s[14:15]
.LBB1_8:                                ;   in Loop: Header=BB1_3 Depth=1
	s_or_b64 exec, exec, s[12:13]
	v_mov_b32_e32 v16, v30
	v_mov_b32_e32 v17, v31
.LBB1_9:                                ;   in Loop: Header=BB1_3 Depth=1
	s_or_saveexec_b64 s[4:5], s[4:5]
	v_mov_b32_e32 v0, 0
	s_xor_b64 exec, exec, s[4:5]
	s_cbranch_execz .LBB1_11
; %bb.10:                               ;   in Loop: Header=BB1_3 Depth=1
	global_load_dwordx2 v[12:13], v[30:31], off
	v_add_u32_e32 v0, -8, v32
.LBB1_11:                               ;   in Loop: Header=BB1_3 Depth=1
	s_or_b64 exec, exec, s[4:5]
	v_add_co_u32_e64 v6, s[4:5], 8, v16
	v_cmp_gt_u32_e32 vcc, 8, v0
	v_addc_co_u32_e64 v7, s[4:5], 0, v17, s[4:5]
                                        ; implicit-def: $vgpr14_vgpr15
	s_and_saveexec_b64 s[4:5], vcc
	s_xor_b64 s[4:5], exec, s[4:5]
	s_cbranch_execz .LBB1_17
; %bb.12:                               ;   in Loop: Header=BB1_3 Depth=1
	v_mov_b32_e32 v14, 0
	v_mov_b32_e32 v15, 0
	v_cmp_ne_u32_e32 vcc, 0, v0
	s_and_saveexec_b64 s[12:13], vcc
	s_cbranch_execz .LBB1_16
; %bb.13:                               ;   in Loop: Header=BB1_3 Depth=1
	v_mov_b32_e32 v14, 0
	s_mov_b64 s[14:15], 0
	v_mov_b32_e32 v15, 0
	s_mov_b64 s[16:17], 0
	s_mov_b64 s[18:19], 0
.LBB1_14:                               ;   Parent Loop BB1_3 Depth=1
                                        ; =>  This Inner Loop Header: Depth=2
	v_mov_b32_e32 v2, s19
	v_add_co_u32_e32 v6, vcc, s18, v16
	v_addc_co_u32_e32 v7, vcc, v17, v2, vcc
	global_load_ubyte v2, v[6:7], off
	s_add_u32 s18, s18, 1
	v_mov_b32_e32 v7, s20
	s_addc_u32 s19, s19, 0
	v_cmp_eq_u32_e32 vcc, s18, v0
	s_waitcnt vmcnt(0)
	v_and_b32_e32 v6, 0xffff, v2
	v_lshlrev_b64 v[6:7], s16, v[6:7]
	s_add_u32 s16, s16, 8
	s_addc_u32 s17, s17, 0
	v_or_b32_e32 v15, v7, v15
	s_or_b64 s[14:15], vcc, s[14:15]
	v_or_b32_e32 v14, v6, v14
	s_andn2_b64 exec, exec, s[14:15]
	s_cbranch_execnz .LBB1_14
; %bb.15:                               ;   in Loop: Header=BB1_3 Depth=1
	s_or_b64 exec, exec, s[14:15]
.LBB1_16:                               ;   in Loop: Header=BB1_3 Depth=1
	s_or_b64 exec, exec, s[12:13]
	v_mov_b32_e32 v6, v16
	v_mov_b32_e32 v7, v17
                                        ; implicit-def: $vgpr0
.LBB1_17:                               ;   in Loop: Header=BB1_3 Depth=1
	s_or_saveexec_b64 s[4:5], s[4:5]
	v_mov_b32_e32 v2, 0
	s_xor_b64 exec, exec, s[4:5]
	s_cbranch_execz .LBB1_19
; %bb.18:                               ;   in Loop: Header=BB1_3 Depth=1
	global_load_dwordx2 v[14:15], v[16:17], off
	v_add_u32_e32 v2, -8, v0
.LBB1_19:                               ;   in Loop: Header=BB1_3 Depth=1
	s_or_b64 exec, exec, s[4:5]
	v_add_co_u32_e64 v20, s[4:5], 8, v6
	v_cmp_gt_u32_e32 vcc, 8, v2
	v_addc_co_u32_e64 v21, s[4:5], 0, v7, s[4:5]
	s_and_saveexec_b64 s[4:5], vcc
	s_xor_b64 s[4:5], exec, s[4:5]
	s_cbranch_execz .LBB1_25
; %bb.20:                               ;   in Loop: Header=BB1_3 Depth=1
	v_mov_b32_e32 v16, 0
	v_mov_b32_e32 v17, 0
	v_cmp_ne_u32_e32 vcc, 0, v2
	s_and_saveexec_b64 s[12:13], vcc
	s_cbranch_execz .LBB1_24
; %bb.21:                               ;   in Loop: Header=BB1_3 Depth=1
	v_mov_b32_e32 v16, 0
	s_mov_b64 s[14:15], 0
	v_mov_b32_e32 v17, 0
	s_mov_b64 s[16:17], 0
	s_mov_b64 s[18:19], 0
.LBB1_22:                               ;   Parent Loop BB1_3 Depth=1
                                        ; =>  This Inner Loop Header: Depth=2
	v_mov_b32_e32 v0, s19
	v_add_co_u32_e32 v18, vcc, s18, v6
	v_addc_co_u32_e32 v19, vcc, v7, v0, vcc
	global_load_ubyte v0, v[18:19], off
	s_add_u32 s18, s18, 1
	v_mov_b32_e32 v19, s20
	s_addc_u32 s19, s19, 0
	v_cmp_eq_u32_e32 vcc, s18, v2
	s_waitcnt vmcnt(0)
	v_and_b32_e32 v18, 0xffff, v0
	v_lshlrev_b64 v[18:19], s16, v[18:19]
	s_add_u32 s16, s16, 8
	s_addc_u32 s17, s17, 0
	v_or_b32_e32 v17, v19, v17
	s_or_b64 s[14:15], vcc, s[14:15]
	v_or_b32_e32 v16, v18, v16
	s_andn2_b64 exec, exec, s[14:15]
	s_cbranch_execnz .LBB1_22
; %bb.23:                               ;   in Loop: Header=BB1_3 Depth=1
	s_or_b64 exec, exec, s[14:15]
.LBB1_24:                               ;   in Loop: Header=BB1_3 Depth=1
	s_or_b64 exec, exec, s[12:13]
	v_mov_b32_e32 v21, v7
	v_mov_b32_e32 v20, v6
                                        ; implicit-def: $vgpr2
.LBB1_25:                               ;   in Loop: Header=BB1_3 Depth=1
	s_or_saveexec_b64 s[4:5], s[4:5]
	v_mov_b32_e32 v0, 0
	s_xor_b64 exec, exec, s[4:5]
	s_cbranch_execz .LBB1_27
; %bb.26:                               ;   in Loop: Header=BB1_3 Depth=1
	global_load_dwordx2 v[16:17], v[6:7], off
	v_add_u32_e32 v0, -8, v2
.LBB1_27:                               ;   in Loop: Header=BB1_3 Depth=1
	s_or_b64 exec, exec, s[4:5]
	v_add_co_u32_e64 v6, s[4:5], 8, v20
	v_cmp_gt_u32_e32 vcc, 8, v0
	v_addc_co_u32_e64 v7, s[4:5], 0, v21, s[4:5]
                                        ; implicit-def: $vgpr18_vgpr19
	s_and_saveexec_b64 s[4:5], vcc
	s_xor_b64 s[4:5], exec, s[4:5]
	s_cbranch_execz .LBB1_33
; %bb.28:                               ;   in Loop: Header=BB1_3 Depth=1
	v_mov_b32_e32 v18, 0
	v_mov_b32_e32 v19, 0
	v_cmp_ne_u32_e32 vcc, 0, v0
	s_and_saveexec_b64 s[12:13], vcc
	s_cbranch_execz .LBB1_32
; %bb.29:                               ;   in Loop: Header=BB1_3 Depth=1
	v_mov_b32_e32 v18, 0
	s_mov_b64 s[14:15], 0
	v_mov_b32_e32 v19, 0
	s_mov_b64 s[16:17], 0
	s_mov_b64 s[18:19], 0
.LBB1_30:                               ;   Parent Loop BB1_3 Depth=1
                                        ; =>  This Inner Loop Header: Depth=2
	v_mov_b32_e32 v2, s19
	v_add_co_u32_e32 v6, vcc, s18, v20
	v_addc_co_u32_e32 v7, vcc, v21, v2, vcc
	global_load_ubyte v2, v[6:7], off
	s_add_u32 s18, s18, 1
	v_mov_b32_e32 v7, s20
	s_addc_u32 s19, s19, 0
	v_cmp_eq_u32_e32 vcc, s18, v0
	s_waitcnt vmcnt(0)
	v_and_b32_e32 v6, 0xffff, v2
	v_lshlrev_b64 v[6:7], s16, v[6:7]
	s_add_u32 s16, s16, 8
	s_addc_u32 s17, s17, 0
	v_or_b32_e32 v19, v7, v19
	s_or_b64 s[14:15], vcc, s[14:15]
	v_or_b32_e32 v18, v6, v18
	s_andn2_b64 exec, exec, s[14:15]
	s_cbranch_execnz .LBB1_30
; %bb.31:                               ;   in Loop: Header=BB1_3 Depth=1
	s_or_b64 exec, exec, s[14:15]
.LBB1_32:                               ;   in Loop: Header=BB1_3 Depth=1
	s_or_b64 exec, exec, s[12:13]
	v_mov_b32_e32 v6, v20
	v_mov_b32_e32 v7, v21
                                        ; implicit-def: $vgpr0
.LBB1_33:                               ;   in Loop: Header=BB1_3 Depth=1
	s_or_saveexec_b64 s[4:5], s[4:5]
	v_mov_b32_e32 v2, 0
	s_xor_b64 exec, exec, s[4:5]
	s_cbranch_execz .LBB1_35
; %bb.34:                               ;   in Loop: Header=BB1_3 Depth=1
	global_load_dwordx2 v[18:19], v[20:21], off
	v_add_u32_e32 v2, -8, v0
.LBB1_35:                               ;   in Loop: Header=BB1_3 Depth=1
	s_or_b64 exec, exec, s[4:5]
	v_add_co_u32_e64 v24, s[4:5], 8, v6
	v_cmp_gt_u32_e32 vcc, 8, v2
	v_addc_co_u32_e64 v25, s[4:5], 0, v7, s[4:5]
	s_and_saveexec_b64 s[4:5], vcc
	s_xor_b64 s[4:5], exec, s[4:5]
	s_cbranch_execz .LBB1_41
; %bb.36:                               ;   in Loop: Header=BB1_3 Depth=1
	v_mov_b32_e32 v20, 0
	v_mov_b32_e32 v21, 0
	v_cmp_ne_u32_e32 vcc, 0, v2
	s_and_saveexec_b64 s[12:13], vcc
	s_cbranch_execz .LBB1_40
; %bb.37:                               ;   in Loop: Header=BB1_3 Depth=1
	v_mov_b32_e32 v20, 0
	s_mov_b64 s[14:15], 0
	v_mov_b32_e32 v21, 0
	s_mov_b64 s[16:17], 0
	s_mov_b64 s[18:19], 0
.LBB1_38:                               ;   Parent Loop BB1_3 Depth=1
                                        ; =>  This Inner Loop Header: Depth=2
	v_mov_b32_e32 v0, s19
	v_add_co_u32_e32 v22, vcc, s18, v6
	v_addc_co_u32_e32 v23, vcc, v7, v0, vcc
	global_load_ubyte v0, v[22:23], off
	s_add_u32 s18, s18, 1
	v_mov_b32_e32 v23, s20
	s_addc_u32 s19, s19, 0
	v_cmp_eq_u32_e32 vcc, s18, v2
	s_waitcnt vmcnt(0)
	v_and_b32_e32 v22, 0xffff, v0
	v_lshlrev_b64 v[22:23], s16, v[22:23]
	s_add_u32 s16, s16, 8
	s_addc_u32 s17, s17, 0
	v_or_b32_e32 v21, v23, v21
	s_or_b64 s[14:15], vcc, s[14:15]
	v_or_b32_e32 v20, v22, v20
	s_andn2_b64 exec, exec, s[14:15]
	s_cbranch_execnz .LBB1_38
; %bb.39:                               ;   in Loop: Header=BB1_3 Depth=1
	s_or_b64 exec, exec, s[14:15]
.LBB1_40:                               ;   in Loop: Header=BB1_3 Depth=1
	s_or_b64 exec, exec, s[12:13]
	v_mov_b32_e32 v25, v7
	v_mov_b32_e32 v24, v6
                                        ; implicit-def: $vgpr2
.LBB1_41:                               ;   in Loop: Header=BB1_3 Depth=1
	s_or_saveexec_b64 s[4:5], s[4:5]
	v_mov_b32_e32 v0, 0
	s_xor_b64 exec, exec, s[4:5]
	s_cbranch_execz .LBB1_43
; %bb.42:                               ;   in Loop: Header=BB1_3 Depth=1
	global_load_dwordx2 v[20:21], v[6:7], off
	v_add_u32_e32 v0, -8, v2
.LBB1_43:                               ;   in Loop: Header=BB1_3 Depth=1
	s_or_b64 exec, exec, s[4:5]
	v_add_co_u32_e64 v6, s[4:5], 8, v24
	v_cmp_gt_u32_e32 vcc, 8, v0
	v_addc_co_u32_e64 v7, s[4:5], 0, v25, s[4:5]
                                        ; implicit-def: $vgpr22_vgpr23
	s_and_saveexec_b64 s[4:5], vcc
	s_xor_b64 s[4:5], exec, s[4:5]
	s_cbranch_execz .LBB1_49
; %bb.44:                               ;   in Loop: Header=BB1_3 Depth=1
	v_mov_b32_e32 v22, 0
	v_mov_b32_e32 v23, 0
	v_cmp_ne_u32_e32 vcc, 0, v0
	s_and_saveexec_b64 s[12:13], vcc
	s_cbranch_execz .LBB1_48
; %bb.45:                               ;   in Loop: Header=BB1_3 Depth=1
	v_mov_b32_e32 v22, 0
	s_mov_b64 s[14:15], 0
	v_mov_b32_e32 v23, 0
	s_mov_b64 s[16:17], 0
	s_mov_b64 s[18:19], 0
.LBB1_46:                               ;   Parent Loop BB1_3 Depth=1
                                        ; =>  This Inner Loop Header: Depth=2
	v_mov_b32_e32 v2, s19
	v_add_co_u32_e32 v6, vcc, s18, v24
	v_addc_co_u32_e32 v7, vcc, v25, v2, vcc
	global_load_ubyte v2, v[6:7], off
	s_add_u32 s18, s18, 1
	v_mov_b32_e32 v7, s20
	s_addc_u32 s19, s19, 0
	v_cmp_eq_u32_e32 vcc, s18, v0
	s_waitcnt vmcnt(0)
	v_and_b32_e32 v6, 0xffff, v2
	v_lshlrev_b64 v[6:7], s16, v[6:7]
	s_add_u32 s16, s16, 8
	s_addc_u32 s17, s17, 0
	v_or_b32_e32 v23, v7, v23
	s_or_b64 s[14:15], vcc, s[14:15]
	v_or_b32_e32 v22, v6, v22
	s_andn2_b64 exec, exec, s[14:15]
	s_cbranch_execnz .LBB1_46
; %bb.47:                               ;   in Loop: Header=BB1_3 Depth=1
	s_or_b64 exec, exec, s[14:15]
.LBB1_48:                               ;   in Loop: Header=BB1_3 Depth=1
	s_or_b64 exec, exec, s[12:13]
	v_mov_b32_e32 v6, v24
	v_mov_b32_e32 v7, v25
                                        ; implicit-def: $vgpr0
.LBB1_49:                               ;   in Loop: Header=BB1_3 Depth=1
	s_or_saveexec_b64 s[4:5], s[4:5]
	v_mov_b32_e32 v2, 0
	s_xor_b64 exec, exec, s[4:5]
	s_cbranch_execz .LBB1_51
; %bb.50:                               ;   in Loop: Header=BB1_3 Depth=1
	global_load_dwordx2 v[22:23], v[24:25], off
	v_add_u32_e32 v2, -8, v0
.LBB1_51:                               ;   in Loop: Header=BB1_3 Depth=1
	s_or_b64 exec, exec, s[4:5]
	v_cmp_gt_u32_e32 vcc, 8, v2
	s_and_saveexec_b64 s[4:5], vcc
	s_xor_b64 s[4:5], exec, s[4:5]
	s_cbranch_execz .LBB1_57
; %bb.52:                               ;   in Loop: Header=BB1_3 Depth=1
	v_mov_b32_e32 v24, 0
	v_mov_b32_e32 v25, 0
	v_cmp_ne_u32_e32 vcc, 0, v2
	s_and_saveexec_b64 s[12:13], vcc
	s_cbranch_execz .LBB1_56
; %bb.53:                               ;   in Loop: Header=BB1_3 Depth=1
	v_mov_b32_e32 v24, 0
	s_mov_b64 s[14:15], 0
	v_mov_b32_e32 v25, 0
	s_mov_b64 s[16:17], 0
.LBB1_54:                               ;   Parent Loop BB1_3 Depth=1
                                        ; =>  This Inner Loop Header: Depth=2
	global_load_ubyte v0, v[6:7], off
	v_mov_b32_e32 v27, s20
	v_add_co_u32_e32 v6, vcc, 1, v6
	v_add_u32_e32 v2, -1, v2
	v_addc_co_u32_e32 v7, vcc, 0, v7, vcc
	v_cmp_eq_u32_e32 vcc, 0, v2
	s_waitcnt vmcnt(0)
	v_and_b32_e32 v26, 0xffff, v0
	v_lshlrev_b64 v[26:27], s16, v[26:27]
	s_add_u32 s16, s16, 8
	s_addc_u32 s17, s17, 0
	v_or_b32_e32 v25, v27, v25
	s_or_b64 s[14:15], vcc, s[14:15]
	v_or_b32_e32 v24, v26, v24
	s_andn2_b64 exec, exec, s[14:15]
	s_cbranch_execnz .LBB1_54
; %bb.55:                               ;   in Loop: Header=BB1_3 Depth=1
	s_or_b64 exec, exec, s[14:15]
.LBB1_56:                               ;   in Loop: Header=BB1_3 Depth=1
	s_or_b64 exec, exec, s[12:13]
                                        ; implicit-def: $vgpr6_vgpr7
.LBB1_57:                               ;   in Loop: Header=BB1_3 Depth=1
	s_andn2_saveexec_b64 s[4:5], s[4:5]
	s_cbranch_execz .LBB1_59
; %bb.58:                               ;   in Loop: Header=BB1_3 Depth=1
	global_load_dwordx2 v[24:25], v[6:7], off
.LBB1_59:                               ;   in Loop: Header=BB1_3 Depth=1
	s_or_b64 exec, exec, s[4:5]
	v_readfirstlane_b32 s4, v39
	v_mov_b32_e32 v6, 0
	v_mov_b32_e32 v7, 0
	v_cmp_eq_u32_e64 s[4:5], s4, v39
	s_and_saveexec_b64 s[12:13], s[4:5]
	s_cbranch_execz .LBB1_65
; %bb.60:                               ;   in Loop: Header=BB1_3 Depth=1
	s_waitcnt lgkmcnt(0)
	global_load_dwordx2 v[28:29], v3, s[10:11] offset:24 glc
	s_waitcnt vmcnt(0)
	buffer_wbinvl1_vol
	global_load_dwordx2 v[6:7], v3, s[10:11] offset:40
	global_load_dwordx2 v[26:27], v3, s[10:11]
	s_waitcnt vmcnt(1)
	v_and_b32_e32 v0, v6, v28
	v_and_b32_e32 v2, v7, v29
	v_mul_lo_u32 v2, v2, 24
	v_mul_hi_u32 v6, v0, 24
	v_mul_lo_u32 v0, v0, 24
	v_add_u32_e32 v2, v6, v2
	s_waitcnt vmcnt(0)
	v_add_co_u32_e32 v6, vcc, v26, v0
	v_addc_co_u32_e32 v7, vcc, v27, v2, vcc
	global_load_dwordx2 v[26:27], v[6:7], off glc
	s_waitcnt vmcnt(0)
	global_atomic_cmpswap_x2 v[6:7], v3, v[26:29], s[10:11] offset:24 glc
	s_waitcnt vmcnt(0)
	buffer_wbinvl1_vol
	v_cmp_ne_u64_e32 vcc, v[6:7], v[28:29]
	s_and_saveexec_b64 s[14:15], vcc
	s_cbranch_execz .LBB1_64
; %bb.61:                               ;   in Loop: Header=BB1_3 Depth=1
	s_mov_b64 s[16:17], 0
.LBB1_62:                               ;   Parent Loop BB1_3 Depth=1
                                        ; =>  This Inner Loop Header: Depth=2
	s_sleep 1
	global_load_dwordx2 v[26:27], v3, s[10:11] offset:40
	global_load_dwordx2 v[34:35], v3, s[10:11]
	v_mov_b32_e32 v29, v7
	v_mov_b32_e32 v28, v6
	s_waitcnt vmcnt(1)
	v_and_b32_e32 v0, v26, v28
	s_waitcnt vmcnt(0)
	v_mad_u64_u32 v[6:7], s[18:19], v0, 24, v[34:35]
	v_and_b32_e32 v2, v27, v29
	v_mov_b32_e32 v0, v7
	v_mad_u64_u32 v[26:27], s[18:19], v2, 24, v[0:1]
	v_mov_b32_e32 v7, v26
	global_load_dwordx2 v[26:27], v[6:7], off glc
	s_waitcnt vmcnt(0)
	global_atomic_cmpswap_x2 v[6:7], v3, v[26:29], s[10:11] offset:24 glc
	s_waitcnt vmcnt(0)
	buffer_wbinvl1_vol
	v_cmp_eq_u64_e32 vcc, v[6:7], v[28:29]
	s_or_b64 s[16:17], vcc, s[16:17]
	s_andn2_b64 exec, exec, s[16:17]
	s_cbranch_execnz .LBB1_62
; %bb.63:                               ;   in Loop: Header=BB1_3 Depth=1
	s_or_b64 exec, exec, s[16:17]
.LBB1_64:                               ;   in Loop: Header=BB1_3 Depth=1
	s_or_b64 exec, exec, s[14:15]
.LBB1_65:                               ;   in Loop: Header=BB1_3 Depth=1
	s_or_b64 exec, exec, s[12:13]
	s_waitcnt lgkmcnt(0)
	global_load_dwordx2 v[34:35], v3, s[10:11] offset:40
	global_load_dwordx4 v[26:29], v3, s[10:11]
	v_readfirstlane_b32 s13, v7
	v_readfirstlane_b32 s12, v6
	s_mov_b64 s[14:15], exec
	s_waitcnt vmcnt(1)
	v_readfirstlane_b32 s16, v34
	v_readfirstlane_b32 s17, v35
	s_and_b64 s[16:17], s[16:17], s[12:13]
	s_mul_i32 s18, s17, 24
	s_mul_hi_u32 s19, s16, 24
	s_mul_i32 s22, s16, 24
	s_add_i32 s18, s19, s18
	v_mov_b32_e32 v0, s18
	s_waitcnt vmcnt(0)
	v_add_co_u32_e32 v34, vcc, s22, v26
	v_addc_co_u32_e32 v35, vcc, v27, v0, vcc
	s_and_saveexec_b64 s[18:19], s[4:5]
	s_cbranch_execz .LBB1_67
; %bb.66:                               ;   in Loop: Header=BB1_3 Depth=1
	v_mov_b32_e32 v6, s14
	v_mov_b32_e32 v7, s15
	global_store_dwordx4 v[34:35], v[6:9], off offset:8
.LBB1_67:                               ;   in Loop: Header=BB1_3 Depth=1
	s_or_b64 exec, exec, s[18:19]
	s_lshl_b64 s[14:15], s[16:17], 12
	v_mov_b32_e32 v2, s15
	v_add_co_u32_e32 v0, vcc, s14, v28
	v_addc_co_u32_e32 v28, vcc, v29, v2, vcc
	v_cmp_gt_u64_e32 vcc, 57, v[4:5]
	v_and_b32_e32 v7, 0xffffff1f, v10
	v_cndmask_b32_e32 v2, 0, v38, vcc
	v_lshl_add_u32 v6, v32, 2, 28
	v_or_b32_e32 v2, v7, v2
	v_and_or_b32 v10, v6, s21, v2
	v_lshlrev_b32_e32 v29, 6, v39
	v_readfirstlane_b32 s14, v0
	v_readfirstlane_b32 s15, v28
	s_nop 4
	global_store_dwordx4 v29, v[10:13], s[14:15]
	global_store_dwordx4 v29, v[14:17], s[14:15] offset:16
	global_store_dwordx4 v29, v[18:21], s[14:15] offset:32
	;; [unrolled: 1-line block ×3, first 2 shown]
	s_and_saveexec_b64 s[14:15], s[4:5]
	s_cbranch_execz .LBB1_75
; %bb.68:                               ;   in Loop: Header=BB1_3 Depth=1
	global_load_dwordx2 v[14:15], v3, s[10:11] offset:32 glc
	global_load_dwordx2 v[6:7], v3, s[10:11] offset:40
	v_mov_b32_e32 v12, s12
	v_mov_b32_e32 v13, s13
	s_waitcnt vmcnt(0)
	v_readfirstlane_b32 s16, v6
	v_readfirstlane_b32 s17, v7
	s_and_b64 s[16:17], s[16:17], s[12:13]
	s_mul_i32 s17, s17, 24
	s_mul_hi_u32 s18, s16, 24
	s_mul_i32 s16, s16, 24
	s_add_i32 s17, s18, s17
	v_mov_b32_e32 v2, s17
	v_add_co_u32_e32 v6, vcc, s16, v26
	v_addc_co_u32_e32 v7, vcc, v27, v2, vcc
	global_store_dwordx2 v[6:7], v[14:15], off
	s_waitcnt vmcnt(0)
	global_atomic_cmpswap_x2 v[12:13], v3, v[12:15], s[10:11] offset:32 glc
	s_waitcnt vmcnt(0)
	v_cmp_ne_u64_e32 vcc, v[12:13], v[14:15]
	s_and_saveexec_b64 s[16:17], vcc
	s_cbranch_execz .LBB1_71
; %bb.69:                               ;   in Loop: Header=BB1_3 Depth=1
	s_mov_b64 s[18:19], 0
.LBB1_70:                               ;   Parent Loop BB1_3 Depth=1
                                        ; =>  This Inner Loop Header: Depth=2
	s_sleep 1
	global_store_dwordx2 v[6:7], v[12:13], off
	v_mov_b32_e32 v10, s12
	v_mov_b32_e32 v11, s13
	s_waitcnt vmcnt(0)
	global_atomic_cmpswap_x2 v[10:11], v3, v[10:13], s[10:11] offset:32 glc
	s_waitcnt vmcnt(0)
	v_cmp_eq_u64_e32 vcc, v[10:11], v[12:13]
	v_mov_b32_e32 v13, v11
	s_or_b64 s[18:19], vcc, s[18:19]
	v_mov_b32_e32 v12, v10
	s_andn2_b64 exec, exec, s[18:19]
	s_cbranch_execnz .LBB1_70
.LBB1_71:                               ;   in Loop: Header=BB1_3 Depth=1
	s_or_b64 exec, exec, s[16:17]
	global_load_dwordx2 v[6:7], v3, s[10:11] offset:16
	s_mov_b64 s[18:19], exec
	v_mbcnt_lo_u32_b32 v2, s18, 0
	v_mbcnt_hi_u32_b32 v2, s19, v2
	v_cmp_eq_u32_e32 vcc, 0, v2
	s_and_saveexec_b64 s[16:17], vcc
	s_cbranch_execz .LBB1_73
; %bb.72:                               ;   in Loop: Header=BB1_3 Depth=1
	s_bcnt1_i32_b64 s18, s[18:19]
	v_mov_b32_e32 v2, s18
	s_waitcnt vmcnt(0)
	global_atomic_add_x2 v[6:7], v[2:3], off offset:8
.LBB1_73:                               ;   in Loop: Header=BB1_3 Depth=1
	s_or_b64 exec, exec, s[16:17]
	s_waitcnt vmcnt(0)
	global_load_dwordx2 v[10:11], v[6:7], off offset:16
	s_waitcnt vmcnt(0)
	v_cmp_eq_u64_e32 vcc, 0, v[10:11]
	s_cbranch_vccnz .LBB1_75
; %bb.74:                               ;   in Loop: Header=BB1_3 Depth=1
	global_load_dword v2, v[6:7], off offset:24
	s_waitcnt vmcnt(0)
	v_readfirstlane_b32 s16, v2
	s_and_b32 m0, s16, 0xffffff
	global_store_dwordx2 v[10:11], v[2:3], off
	s_sendmsg sendmsg(MSG_INTERRUPT)
.LBB1_75:                               ;   in Loop: Header=BB1_3 Depth=1
	s_or_b64 exec, exec, s[14:15]
	v_add_co_u32_e32 v6, vcc, v0, v29
	v_addc_co_u32_e32 v7, vcc, 0, v28, vcc
	s_branch .LBB1_79
.LBB1_76:                               ;   in Loop: Header=BB1_79 Depth=2
	s_or_b64 exec, exec, s[14:15]
	v_readfirstlane_b32 s14, v0
	s_cmp_eq_u32 s14, 0
	s_cbranch_scc1 .LBB1_78
; %bb.77:                               ;   in Loop: Header=BB1_79 Depth=2
	s_sleep 1
	s_cbranch_execnz .LBB1_79
	s_branch .LBB1_81
.LBB1_78:                               ;   in Loop: Header=BB1_3 Depth=1
	s_branch .LBB1_81
.LBB1_79:                               ;   Parent Loop BB1_3 Depth=1
                                        ; =>  This Inner Loop Header: Depth=2
	v_mov_b32_e32 v0, 1
	s_and_saveexec_b64 s[14:15], s[4:5]
	s_cbranch_execz .LBB1_76
; %bb.80:                               ;   in Loop: Header=BB1_79 Depth=2
	global_load_dword v0, v[34:35], off offset:20 glc
	s_waitcnt vmcnt(0)
	buffer_wbinvl1_vol
	v_and_b32_e32 v0, 1, v0
	s_branch .LBB1_76
.LBB1_81:                               ;   in Loop: Header=BB1_3 Depth=1
	global_load_dwordx4 v[10:13], v[6:7], off
	s_and_saveexec_b64 s[14:15], s[4:5]
	s_cbranch_execz .LBB1_2
; %bb.82:                               ;   in Loop: Header=BB1_3 Depth=1
	global_load_dwordx2 v[6:7], v3, s[10:11] offset:40
	global_load_dwordx2 v[16:17], v3, s[10:11] offset:24 glc
	global_load_dwordx2 v[12:13], v3, s[10:11]
	s_waitcnt vmcnt(2)
	v_readfirstlane_b32 s16, v6
	v_readfirstlane_b32 s17, v7
	s_add_u32 s18, s16, 1
	s_addc_u32 s19, s17, 0
	s_add_u32 s4, s18, s12
	s_addc_u32 s5, s19, s13
	s_cmp_eq_u64 s[4:5], 0
	s_cselect_b32 s5, s19, s5
	s_cselect_b32 s4, s18, s4
	s_and_b64 s[12:13], s[4:5], s[16:17]
	s_mul_i32 s13, s13, 24
	s_mul_hi_u32 s16, s12, 24
	s_mul_i32 s12, s12, 24
	s_add_i32 s13, s16, s13
	v_mov_b32_e32 v0, s13
	s_waitcnt vmcnt(0)
	v_add_co_u32_e32 v6, vcc, s12, v12
	v_addc_co_u32_e32 v7, vcc, v13, v0, vcc
	v_mov_b32_e32 v14, s4
	global_store_dwordx2 v[6:7], v[16:17], off
	v_mov_b32_e32 v15, s5
	s_waitcnt vmcnt(0)
	global_atomic_cmpswap_x2 v[14:15], v3, v[14:17], s[10:11] offset:24 glc
	s_waitcnt vmcnt(0)
	v_cmp_ne_u64_e32 vcc, v[14:15], v[16:17]
	s_and_b64 exec, exec, vcc
	s_cbranch_execz .LBB1_2
; %bb.83:                               ;   in Loop: Header=BB1_3 Depth=1
	s_mov_b64 s[12:13], 0
.LBB1_84:                               ;   Parent Loop BB1_3 Depth=1
                                        ; =>  This Inner Loop Header: Depth=2
	s_sleep 1
	global_store_dwordx2 v[6:7], v[14:15], off
	v_mov_b32_e32 v12, s4
	v_mov_b32_e32 v13, s5
	s_waitcnt vmcnt(0)
	global_atomic_cmpswap_x2 v[12:13], v3, v[12:15], s[10:11] offset:24 glc
	s_waitcnt vmcnt(0)
	v_cmp_eq_u64_e32 vcc, v[12:13], v[14:15]
	v_mov_b32_e32 v15, v13
	s_or_b64 s[12:13], vcc, s[12:13]
	v_mov_b32_e32 v14, v12
	s_andn2_b64 exec, exec, s[12:13]
	s_cbranch_execnz .LBB1_84
	s_branch .LBB1_2
.LBB1_85:
	s_or_b64 exec, exec, s[6:7]
	s_branch .LBB1_113
.LBB1_86:
	s_load_dwordx2 s[6:7], s[8:9], 0x50
	v_mbcnt_hi_u32_b32 v3, -1, v37
	v_readfirstlane_b32 s4, v3
	v_mov_b32_e32 v8, 0
	v_mov_b32_e32 v9, 0
	v_cmp_eq_u32_e64 s[4:5], s4, v3
	s_and_saveexec_b64 s[8:9], s[4:5]
	s_cbranch_execz .LBB1_92
; %bb.87:
	v_mov_b32_e32 v0, 0
	s_waitcnt lgkmcnt(0)
	global_load_dwordx2 v[6:7], v0, s[6:7] offset:24 glc
	s_waitcnt vmcnt(0)
	buffer_wbinvl1_vol
	global_load_dwordx2 v[4:5], v0, s[6:7] offset:40
	global_load_dwordx2 v[8:9], v0, s[6:7]
	s_waitcnt vmcnt(1)
	v_and_b32_e32 v2, v4, v6
	v_and_b32_e32 v4, v5, v7
	v_mul_lo_u32 v4, v4, 24
	v_mul_hi_u32 v5, v2, 24
	v_mul_lo_u32 v2, v2, 24
	v_add_u32_e32 v5, v5, v4
	s_waitcnt vmcnt(0)
	v_add_co_u32_e32 v4, vcc, v8, v2
	v_addc_co_u32_e32 v5, vcc, v9, v5, vcc
	global_load_dwordx2 v[4:5], v[4:5], off glc
	s_waitcnt vmcnt(0)
	global_atomic_cmpswap_x2 v[8:9], v0, v[4:7], s[6:7] offset:24 glc
	s_waitcnt vmcnt(0)
	buffer_wbinvl1_vol
	v_cmp_ne_u64_e32 vcc, v[8:9], v[6:7]
	s_and_saveexec_b64 s[10:11], vcc
	s_cbranch_execz .LBB1_91
; %bb.88:
	s_mov_b64 s[12:13], 0
.LBB1_89:                               ; =>This Inner Loop Header: Depth=1
	s_sleep 1
	global_load_dwordx2 v[4:5], v0, s[6:7] offset:40
	global_load_dwordx2 v[10:11], v0, s[6:7]
	v_mov_b32_e32 v6, v8
	v_mov_b32_e32 v7, v9
	s_waitcnt vmcnt(1)
	v_and_b32_e32 v2, v4, v6
	s_waitcnt vmcnt(0)
	v_mad_u64_u32 v[8:9], s[14:15], v2, 24, v[10:11]
	v_and_b32_e32 v4, v5, v7
	v_mov_b32_e32 v2, v9
	v_mad_u64_u32 v[4:5], s[14:15], v4, 24, v[2:3]
	v_mov_b32_e32 v9, v4
	global_load_dwordx2 v[4:5], v[8:9], off glc
	s_waitcnt vmcnt(0)
	global_atomic_cmpswap_x2 v[8:9], v0, v[4:7], s[6:7] offset:24 glc
	s_waitcnt vmcnt(0)
	buffer_wbinvl1_vol
	v_cmp_eq_u64_e32 vcc, v[8:9], v[6:7]
	s_or_b64 s[12:13], vcc, s[12:13]
	s_andn2_b64 exec, exec, s[12:13]
	s_cbranch_execnz .LBB1_89
; %bb.90:
	s_or_b64 exec, exec, s[12:13]
.LBB1_91:
	s_or_b64 exec, exec, s[10:11]
.LBB1_92:
	s_or_b64 exec, exec, s[8:9]
	v_mov_b32_e32 v2, 0
	s_waitcnt lgkmcnt(0)
	global_load_dwordx2 v[10:11], v2, s[6:7] offset:40
	global_load_dwordx4 v[4:7], v2, s[6:7]
	v_readfirstlane_b32 s9, v9
	v_readfirstlane_b32 s8, v8
	s_mov_b64 s[10:11], exec
	s_waitcnt vmcnt(1)
	v_readfirstlane_b32 s12, v10
	v_readfirstlane_b32 s13, v11
	s_and_b64 s[12:13], s[12:13], s[8:9]
	s_mul_i32 s14, s13, 24
	s_mul_hi_u32 s15, s12, 24
	s_mul_i32 s16, s12, 24
	s_add_i32 s14, s15, s14
	v_mov_b32_e32 v0, s14
	s_waitcnt vmcnt(0)
	v_add_co_u32_e32 v8, vcc, s16, v4
	v_addc_co_u32_e32 v9, vcc, v5, v0, vcc
	s_and_saveexec_b64 s[14:15], s[4:5]
	s_cbranch_execz .LBB1_94
; %bb.93:
	v_mov_b32_e32 v10, s10
	v_mov_b32_e32 v11, s11
	;; [unrolled: 1-line block ×4, first 2 shown]
	global_store_dwordx4 v[8:9], v[10:13], off offset:8
.LBB1_94:
	s_or_b64 exec, exec, s[14:15]
	s_lshl_b64 s[10:11], s[12:13], 12
	v_mov_b32_e32 v0, s11
	v_add_co_u32_e32 v6, vcc, s10, v6
	v_addc_co_u32_e32 v7, vcc, v7, v0, vcc
	s_movk_i32 s10, 0xff1f
	v_and_or_b32 v0, v36, s10, 32
	v_lshlrev_b32_e32 v10, 6, v3
	s_mov_b32 s12, 0
	v_mov_b32_e32 v3, v2
	v_readfirstlane_b32 s10, v6
	v_readfirstlane_b32 s11, v7
	s_mov_b32 s13, s12
	s_mov_b32 s14, s12
	;; [unrolled: 1-line block ×3, first 2 shown]
	s_nop 1
	global_store_dwordx4 v10, v[0:3], s[10:11]
	s_nop 0
	v_mov_b32_e32 v0, s12
	v_mov_b32_e32 v1, s13
	;; [unrolled: 1-line block ×4, first 2 shown]
	global_store_dwordx4 v10, v[0:3], s[10:11] offset:16
	global_store_dwordx4 v10, v[0:3], s[10:11] offset:32
	;; [unrolled: 1-line block ×3, first 2 shown]
	s_and_saveexec_b64 s[10:11], s[4:5]
	s_cbranch_execz .LBB1_102
; %bb.95:
	v_mov_b32_e32 v6, 0
	global_load_dwordx2 v[12:13], v6, s[6:7] offset:32 glc
	global_load_dwordx2 v[0:1], v6, s[6:7] offset:40
	v_mov_b32_e32 v10, s8
	v_mov_b32_e32 v11, s9
	s_waitcnt vmcnt(0)
	v_and_b32_e32 v0, s8, v0
	v_and_b32_e32 v1, s9, v1
	v_mul_lo_u32 v1, v1, 24
	v_mul_hi_u32 v2, v0, 24
	v_mul_lo_u32 v0, v0, 24
	v_add_u32_e32 v1, v2, v1
	v_add_co_u32_e32 v4, vcc, v4, v0
	v_addc_co_u32_e32 v5, vcc, v5, v1, vcc
	global_store_dwordx2 v[4:5], v[12:13], off
	s_waitcnt vmcnt(0)
	global_atomic_cmpswap_x2 v[2:3], v6, v[10:13], s[6:7] offset:32 glc
	s_waitcnt vmcnt(0)
	v_cmp_ne_u64_e32 vcc, v[2:3], v[12:13]
	s_and_saveexec_b64 s[12:13], vcc
	s_cbranch_execz .LBB1_98
; %bb.96:
	s_mov_b64 s[14:15], 0
.LBB1_97:                               ; =>This Inner Loop Header: Depth=1
	s_sleep 1
	global_store_dwordx2 v[4:5], v[2:3], off
	v_mov_b32_e32 v0, s8
	v_mov_b32_e32 v1, s9
	s_waitcnt vmcnt(0)
	global_atomic_cmpswap_x2 v[0:1], v6, v[0:3], s[6:7] offset:32 glc
	s_waitcnt vmcnt(0)
	v_cmp_eq_u64_e32 vcc, v[0:1], v[2:3]
	v_mov_b32_e32 v3, v1
	s_or_b64 s[14:15], vcc, s[14:15]
	v_mov_b32_e32 v2, v0
	s_andn2_b64 exec, exec, s[14:15]
	s_cbranch_execnz .LBB1_97
.LBB1_98:
	s_or_b64 exec, exec, s[12:13]
	v_mov_b32_e32 v3, 0
	global_load_dwordx2 v[0:1], v3, s[6:7] offset:16
	s_mov_b64 s[12:13], exec
	v_mbcnt_lo_u32_b32 v2, s12, 0
	v_mbcnt_hi_u32_b32 v2, s13, v2
	v_cmp_eq_u32_e32 vcc, 0, v2
	s_and_saveexec_b64 s[14:15], vcc
	s_cbranch_execz .LBB1_100
; %bb.99:
	s_bcnt1_i32_b64 s12, s[12:13]
	v_mov_b32_e32 v2, s12
	s_waitcnt vmcnt(0)
	global_atomic_add_x2 v[0:1], v[2:3], off offset:8
.LBB1_100:
	s_or_b64 exec, exec, s[14:15]
	s_waitcnt vmcnt(0)
	global_load_dwordx2 v[2:3], v[0:1], off offset:16
	s_waitcnt vmcnt(0)
	v_cmp_eq_u64_e32 vcc, 0, v[2:3]
	s_cbranch_vccnz .LBB1_102
; %bb.101:
	global_load_dword v0, v[0:1], off offset:24
	v_mov_b32_e32 v1, 0
	s_waitcnt vmcnt(0)
	v_readfirstlane_b32 s12, v0
	s_and_b32 m0, s12, 0xffffff
	global_store_dwordx2 v[2:3], v[0:1], off
	s_sendmsg sendmsg(MSG_INTERRUPT)
.LBB1_102:
	s_or_b64 exec, exec, s[10:11]
	s_branch .LBB1_106
.LBB1_103:                              ;   in Loop: Header=BB1_106 Depth=1
	s_or_b64 exec, exec, s[10:11]
	v_readfirstlane_b32 s10, v0
	s_cmp_eq_u32 s10, 0
	s_cbranch_scc1 .LBB1_105
; %bb.104:                              ;   in Loop: Header=BB1_106 Depth=1
	s_sleep 1
	s_cbranch_execnz .LBB1_106
	s_branch .LBB1_108
.LBB1_105:
	s_branch .LBB1_108
.LBB1_106:                              ; =>This Inner Loop Header: Depth=1
	v_mov_b32_e32 v0, 1
	s_and_saveexec_b64 s[10:11], s[4:5]
	s_cbranch_execz .LBB1_103
; %bb.107:                              ;   in Loop: Header=BB1_106 Depth=1
	global_load_dword v0, v[8:9], off offset:20 glc
	s_waitcnt vmcnt(0)
	buffer_wbinvl1_vol
	v_and_b32_e32 v0, 1, v0
	s_branch .LBB1_103
.LBB1_108:
	s_and_saveexec_b64 s[10:11], s[4:5]
	s_cbranch_execz .LBB1_111
; %bb.109:
	v_mov_b32_e32 v6, 0
	global_load_dwordx2 v[0:1], v6, s[6:7] offset:40
	global_load_dwordx2 v[9:10], v6, s[6:7] offset:24 glc
	global_load_dwordx2 v[2:3], v6, s[6:7]
	s_waitcnt vmcnt(2)
	v_readfirstlane_b32 s12, v0
	v_readfirstlane_b32 s13, v1
	s_add_u32 s14, s12, 1
	s_addc_u32 s15, s13, 0
	s_add_u32 s4, s14, s8
	s_addc_u32 s5, s15, s9
	s_cmp_eq_u64 s[4:5], 0
	s_cselect_b32 s5, s15, s5
	s_cselect_b32 s4, s14, s4
	s_and_b64 s[8:9], s[4:5], s[12:13]
	s_mul_i32 s9, s9, 24
	s_mul_hi_u32 s12, s8, 24
	s_mul_i32 s8, s8, 24
	s_add_i32 s9, s12, s9
	v_mov_b32_e32 v0, s9
	s_waitcnt vmcnt(0)
	v_add_co_u32_e32 v4, vcc, s8, v2
	v_addc_co_u32_e32 v5, vcc, v3, v0, vcc
	v_mov_b32_e32 v7, s4
	global_store_dwordx2 v[4:5], v[9:10], off
	v_mov_b32_e32 v8, s5
	s_waitcnt vmcnt(0)
	global_atomic_cmpswap_x2 v[2:3], v6, v[7:10], s[6:7] offset:24 glc
	s_mov_b64 s[8:9], 0
	s_waitcnt vmcnt(0)
	v_cmp_ne_u64_e32 vcc, v[2:3], v[9:10]
	s_and_b64 exec, exec, vcc
	s_cbranch_execz .LBB1_111
.LBB1_110:                              ; =>This Inner Loop Header: Depth=1
	s_sleep 1
	global_store_dwordx2 v[4:5], v[2:3], off
	v_mov_b32_e32 v0, s4
	v_mov_b32_e32 v1, s5
	s_waitcnt vmcnt(0)
	global_atomic_cmpswap_x2 v[0:1], v6, v[0:3], s[6:7] offset:24 glc
	s_waitcnt vmcnt(0)
	v_cmp_eq_u64_e32 vcc, v[0:1], v[2:3]
	v_mov_b32_e32 v3, v1
	s_or_b64 s[8:9], vcc, s[8:9]
	v_mov_b32_e32 v2, v0
	s_andn2_b64 exec, exec, s[8:9]
	s_cbranch_execnz .LBB1_110
.LBB1_111:
	s_or_b64 exec, exec, s[10:11]
	s_waitcnt vmcnt(0) lgkmcnt(0)
	s_setpc_b64 s[30:31]
.LBB1_112:
	s_cbranch_execnz .LBB1_86
.LBB1_113:
	s_waitcnt vmcnt(0) lgkmcnt(0)
	s_setpc_b64 s[30:31]
.Lfunc_end1:
	.size	__ockl_fprintf_append_string_n, .Lfunc_end1-__ockl_fprintf_append_string_n
                                        ; -- End function
	.set .L__ockl_fprintf_append_string_n.num_vgpr, 40
	.set .L__ockl_fprintf_append_string_n.num_agpr, 0
	.set .L__ockl_fprintf_append_string_n.numbered_sgpr, 32
	.set .L__ockl_fprintf_append_string_n.num_named_barrier, 0
	.set .L__ockl_fprintf_append_string_n.private_seg_size, 0
	.set .L__ockl_fprintf_append_string_n.uses_vcc, 1
	.set .L__ockl_fprintf_append_string_n.uses_flat_scratch, 0
	.set .L__ockl_fprintf_append_string_n.has_dyn_sized_stack, 0
	.set .L__ockl_fprintf_append_string_n.has_recursion, 0
	.set .L__ockl_fprintf_append_string_n.has_indirect_call, 0
	.section	.AMDGPU.csdata,"",@progbits
; Function info:
; codeLenInByte = 3900
; TotalNumSgprs: 36
; NumVgprs: 40
; ScratchSize: 0
; MemoryBound: 0
	.text
	.p2align	2                               ; -- Begin function __assert_fail
	.type	__assert_fail,@function
__assert_fail:                          ; @__assert_fail
; %bb.0:
	s_waitcnt vmcnt(0) expcnt(0) lgkmcnt(0)
	s_mov_b32 s25, s33
	s_mov_b32 s33, s32
	s_or_saveexec_b64 s[4:5], -1
	buffer_store_dword v40, off, s[0:3], s33 offset:48 ; 4-byte Folded Spill
	s_mov_b64 exec, s[4:5]
	v_writelane_b32 v40, s30, 0
	s_addk_i32 s32, 0x1000
	v_writelane_b32 v40, s31, 1
	v_mov_b32_e32 v6, 0
	s_getpc_b64 s[4:5]
	s_add_u32 s4, s4, __const.__assert_fail.fmt@rel32@lo+35
	s_addc_u32 s5, s5, __const.__assert_fail.fmt@rel32@hi+43
	global_load_dwordx4 v[0:3], v6, s[4:5]
	s_getpc_b64 s[16:17]
	s_add_u32 s16, s16, __const.__assert_fail.fmt@rel32@lo+4
	s_addc_u32 s17, s17, __const.__assert_fail.fmt@rel32@hi+12
	s_getpc_b64 s[18:19]
	s_add_u32 s18, s18, __const.__assert_fail.fmt@rel32@lo+20
	s_addc_u32 s19, s19, __const.__assert_fail.fmt@rel32@hi+28
	v_mbcnt_lo_u32_b32 v7, -1, 0
	s_load_dwordx4 s[4:7], s[16:17], 0x0
	s_load_dwordx4 s[12:15], s[18:19], 0x0
	s_load_dwordx2 s[10:11], s[8:9], 0x50
	v_mbcnt_hi_u32_b32 v32, -1, v7
	v_mov_b32_e32 v4, 0
	v_readfirstlane_b32 s16, v32
	v_mov_b32_e32 v5, 0
	s_waitcnt lgkmcnt(0)
	v_mov_b32_e32 v7, s7
	v_mov_b32_e32 v9, s5
	;; [unrolled: 1-line block ×3, first 2 shown]
	v_cmp_eq_u32_e64 s[4:5], s16, v32
	v_mov_b32_e32 v8, s6
	v_mov_b32_e32 v11, s15
	;; [unrolled: 1-line block ×5, first 2 shown]
	buffer_store_dword v7, off, s[0:3], s33 offset:12
	buffer_store_dword v8, off, s[0:3], s33 offset:8
	;; [unrolled: 1-line block ×3, first 2 shown]
	buffer_store_dword v10, off, s[0:3], s33
	buffer_store_dword v11, off, s[0:3], s33 offset:28
	buffer_store_dword v12, off, s[0:3], s33 offset:24
	buffer_store_dword v13, off, s[0:3], s33 offset:20
	buffer_store_dword v14, off, s[0:3], s33 offset:16
	s_waitcnt vmcnt(8)
	buffer_store_dword v3, off, s[0:3], s33 offset:43
	buffer_store_dword v2, off, s[0:3], s33 offset:39
	;; [unrolled: 1-line block ×4, first 2 shown]
	s_and_saveexec_b64 s[6:7], s[4:5]
	s_cbranch_execz .LBB2_6
; %bb.1:
	global_load_dwordx2 v[2:3], v6, s[10:11] offset:24 glc
	s_waitcnt vmcnt(0)
	buffer_wbinvl1_vol
	global_load_dwordx2 v[0:1], v6, s[10:11] offset:40
	global_load_dwordx2 v[4:5], v6, s[10:11]
	s_waitcnt vmcnt(1)
	v_and_b32_e32 v0, v0, v2
	v_and_b32_e32 v1, v1, v3
	v_mul_lo_u32 v1, v1, 24
	v_mul_hi_u32 v7, v0, 24
	v_mul_lo_u32 v0, v0, 24
	v_add_u32_e32 v1, v7, v1
	s_waitcnt vmcnt(0)
	v_add_co_u32_e32 v0, vcc, v4, v0
	v_addc_co_u32_e32 v1, vcc, v5, v1, vcc
	global_load_dwordx2 v[0:1], v[0:1], off glc
	s_waitcnt vmcnt(0)
	global_atomic_cmpswap_x2 v[4:5], v6, v[0:3], s[10:11] offset:24 glc
	s_waitcnt vmcnt(0)
	buffer_wbinvl1_vol
	v_cmp_ne_u64_e32 vcc, v[4:5], v[2:3]
	s_and_saveexec_b64 s[12:13], vcc
	s_cbranch_execz .LBB2_5
; %bb.2:
	s_mov_b64 s[14:15], 0
	v_mov_b32_e32 v0, 0
.LBB2_3:                                ; =>This Inner Loop Header: Depth=1
	s_sleep 1
	global_load_dwordx2 v[1:2], v0, s[10:11] offset:40
	global_load_dwordx2 v[7:8], v0, s[10:11]
	v_mov_b32_e32 v10, v5
	v_mov_b32_e32 v9, v4
	s_waitcnt vmcnt(1)
	v_and_b32_e32 v1, v1, v9
	s_waitcnt vmcnt(0)
	v_mad_u64_u32 v[3:4], s[16:17], v1, 24, v[7:8]
	v_and_b32_e32 v2, v2, v10
	v_mov_b32_e32 v1, v4
	v_mad_u64_u32 v[1:2], s[16:17], v2, 24, v[1:2]
	v_mov_b32_e32 v4, v1
	global_load_dwordx2 v[7:8], v[3:4], off glc
	s_waitcnt vmcnt(0)
	global_atomic_cmpswap_x2 v[4:5], v0, v[7:10], s[10:11] offset:24 glc
	s_waitcnt vmcnt(0)
	buffer_wbinvl1_vol
	v_cmp_eq_u64_e32 vcc, v[4:5], v[9:10]
	s_or_b64 s[14:15], vcc, s[14:15]
	s_andn2_b64 exec, exec, s[14:15]
	s_cbranch_execnz .LBB2_3
; %bb.4:
	s_or_b64 exec, exec, s[14:15]
.LBB2_5:
	s_or_b64 exec, exec, s[12:13]
.LBB2_6:
	s_or_b64 exec, exec, s[6:7]
	global_load_dwordx2 v[7:8], v6, s[10:11] offset:40
	global_load_dwordx4 v[0:3], v6, s[10:11]
	v_readfirstlane_b32 s7, v5
	v_readfirstlane_b32 s6, v4
	s_mov_b64 s[12:13], exec
	s_waitcnt vmcnt(1)
	v_readfirstlane_b32 s14, v7
	v_readfirstlane_b32 s15, v8
	s_and_b64 s[14:15], s[14:15], s[6:7]
	s_mul_i32 s16, s15, 24
	s_mul_hi_u32 s17, s14, 24
	s_mul_i32 s18, s14, 24
	s_add_i32 s16, s17, s16
	v_mov_b32_e32 v4, s16
	s_waitcnt vmcnt(0)
	v_add_co_u32_e32 v6, vcc, s18, v0
	v_addc_co_u32_e32 v7, vcc, v1, v4, vcc
	s_and_saveexec_b64 s[16:17], s[4:5]
	s_cbranch_execz .LBB2_8
; %bb.7:
	v_mov_b32_e32 v8, s12
	v_mov_b32_e32 v9, s13
	;; [unrolled: 1-line block ×4, first 2 shown]
	global_store_dwordx4 v[6:7], v[8:11], off offset:8
.LBB2_8:
	s_or_b64 exec, exec, s[16:17]
	s_lshl_b64 s[12:13], s[14:15], 12
	v_mov_b32_e32 v4, s13
	v_add_co_u32_e32 v10, vcc, s12, v2
	v_addc_co_u32_e32 v11, vcc, v3, v4, vcc
	v_lshlrev_b32_e32 v33, 6, v32
	v_add_co_u32_e32 v8, vcc, v10, v33
	s_mov_b32 s12, 0
	v_mov_b32_e32 v3, 0
	v_addc_co_u32_e32 v9, vcc, 0, v11, vcc
	v_readfirstlane_b32 s16, v10
	v_readfirstlane_b32 s17, v11
	s_mov_b32 s13, s12
	s_mov_b32 s14, s12
	;; [unrolled: 1-line block ×3, first 2 shown]
	v_mov_b32_e32 v10, s12
	v_mov_b32_e32 v2, 33
	;; [unrolled: 1-line block ×7, first 2 shown]
	global_store_dwordx4 v33, v[2:5], s[16:17]
	global_store_dwordx4 v33, v[10:13], s[16:17] offset:16
	global_store_dwordx4 v33, v[10:13], s[16:17] offset:32
	;; [unrolled: 1-line block ×3, first 2 shown]
	s_and_saveexec_b64 s[12:13], s[4:5]
	s_cbranch_execz .LBB2_16
; %bb.9:
	global_load_dwordx2 v[12:13], v3, s[10:11] offset:32 glc
	global_load_dwordx2 v[4:5], v3, s[10:11] offset:40
	v_mov_b32_e32 v10, s6
	v_mov_b32_e32 v11, s7
	s_waitcnt vmcnt(0)
	v_and_b32_e32 v2, s6, v4
	v_and_b32_e32 v4, s7, v5
	v_mul_lo_u32 v4, v4, 24
	v_mul_hi_u32 v5, v2, 24
	v_mul_lo_u32 v2, v2, 24
	v_add_u32_e32 v5, v5, v4
	v_add_co_u32_e32 v4, vcc, v0, v2
	v_addc_co_u32_e32 v5, vcc, v1, v5, vcc
	global_store_dwordx2 v[4:5], v[12:13], off
	s_waitcnt vmcnt(0)
	global_atomic_cmpswap_x2 v[2:3], v3, v[10:13], s[10:11] offset:32 glc
	s_waitcnt vmcnt(0)
	v_cmp_ne_u64_e32 vcc, v[2:3], v[12:13]
	s_and_saveexec_b64 s[14:15], vcc
	s_cbranch_execz .LBB2_12
; %bb.10:
	s_mov_b64 s[16:17], 0
	v_mov_b32_e32 v10, 0
.LBB2_11:                               ; =>This Inner Loop Header: Depth=1
	s_sleep 1
	global_store_dwordx2 v[4:5], v[2:3], off
	v_mov_b32_e32 v0, s6
	v_mov_b32_e32 v1, s7
	s_waitcnt vmcnt(0)
	global_atomic_cmpswap_x2 v[0:1], v10, v[0:3], s[10:11] offset:32 glc
	s_waitcnt vmcnt(0)
	v_cmp_eq_u64_e32 vcc, v[0:1], v[2:3]
	v_mov_b32_e32 v3, v1
	s_or_b64 s[16:17], vcc, s[16:17]
	v_mov_b32_e32 v2, v0
	s_andn2_b64 exec, exec, s[16:17]
	s_cbranch_execnz .LBB2_11
.LBB2_12:
	s_or_b64 exec, exec, s[14:15]
	v_mov_b32_e32 v3, 0
	global_load_dwordx2 v[0:1], v3, s[10:11] offset:16
	s_mov_b64 s[14:15], exec
	v_mbcnt_lo_u32_b32 v2, s14, 0
	v_mbcnt_hi_u32_b32 v2, s15, v2
	v_cmp_eq_u32_e32 vcc, 0, v2
	s_and_saveexec_b64 s[16:17], vcc
	s_cbranch_execz .LBB2_14
; %bb.13:
	s_bcnt1_i32_b64 s14, s[14:15]
	v_mov_b32_e32 v2, s14
	s_waitcnt vmcnt(0)
	global_atomic_add_x2 v[0:1], v[2:3], off offset:8
.LBB2_14:
	s_or_b64 exec, exec, s[16:17]
	s_waitcnt vmcnt(0)
	global_load_dwordx2 v[2:3], v[0:1], off offset:16
	s_waitcnt vmcnt(0)
	v_cmp_eq_u64_e32 vcc, 0, v[2:3]
	s_cbranch_vccnz .LBB2_16
; %bb.15:
	global_load_dword v0, v[0:1], off offset:24
	v_mov_b32_e32 v1, 0
	s_waitcnt vmcnt(0)
	v_readfirstlane_b32 s14, v0
	s_and_b32 m0, s14, 0xffffff
	global_store_dwordx2 v[2:3], v[0:1], off
	s_sendmsg sendmsg(MSG_INTERRUPT)
.LBB2_16:
	s_or_b64 exec, exec, s[12:13]
	s_branch .LBB2_20
.LBB2_17:                               ;   in Loop: Header=BB2_20 Depth=1
	s_or_b64 exec, exec, s[12:13]
	v_readfirstlane_b32 s12, v0
	s_cmp_eq_u32 s12, 0
	s_cbranch_scc1 .LBB2_19
; %bb.18:                               ;   in Loop: Header=BB2_20 Depth=1
	s_sleep 1
	s_cbranch_execnz .LBB2_20
	s_branch .LBB2_22
.LBB2_19:
	s_branch .LBB2_22
.LBB2_20:                               ; =>This Inner Loop Header: Depth=1
	v_mov_b32_e32 v0, 1
	s_and_saveexec_b64 s[12:13], s[4:5]
	s_cbranch_execz .LBB2_17
; %bb.21:                               ;   in Loop: Header=BB2_20 Depth=1
	global_load_dword v0, v[6:7], off offset:20 glc
	s_waitcnt vmcnt(0)
	buffer_wbinvl1_vol
	v_and_b32_e32 v0, 1, v0
	s_branch .LBB2_17
.LBB2_22:
	global_load_dwordx2 v[4:5], v[8:9], off
	s_and_saveexec_b64 s[12:13], s[4:5]
	s_cbranch_execz .LBB2_25
; %bb.23:
	v_mov_b32_e32 v8, 0
	global_load_dwordx2 v[0:1], v8, s[10:11] offset:40
	global_load_dwordx2 v[11:12], v8, s[10:11] offset:24 glc
	global_load_dwordx2 v[2:3], v8, s[10:11]
	s_waitcnt vmcnt(2)
	v_readfirstlane_b32 s14, v0
	v_readfirstlane_b32 s15, v1
	s_add_u32 s16, s14, 1
	s_addc_u32 s17, s15, 0
	s_add_u32 s4, s16, s6
	s_addc_u32 s5, s17, s7
	s_cmp_eq_u64 s[4:5], 0
	s_cselect_b32 s5, s17, s5
	s_cselect_b32 s4, s16, s4
	s_and_b64 s[6:7], s[4:5], s[14:15]
	s_mul_i32 s7, s7, 24
	s_mul_hi_u32 s14, s6, 24
	s_mul_i32 s6, s6, 24
	s_add_i32 s7, s14, s7
	v_mov_b32_e32 v0, s7
	s_waitcnt vmcnt(0)
	v_add_co_u32_e32 v6, vcc, s6, v2
	v_addc_co_u32_e32 v7, vcc, v3, v0, vcc
	v_mov_b32_e32 v9, s4
	global_store_dwordx2 v[6:7], v[11:12], off
	v_mov_b32_e32 v10, s5
	s_waitcnt vmcnt(0)
	global_atomic_cmpswap_x2 v[2:3], v8, v[9:12], s[10:11] offset:24 glc
	s_mov_b64 s[6:7], 0
	s_waitcnt vmcnt(0)
	v_cmp_ne_u64_e32 vcc, v[2:3], v[11:12]
	s_and_b64 exec, exec, vcc
	s_cbranch_execz .LBB2_25
.LBB2_24:                               ; =>This Inner Loop Header: Depth=1
	s_sleep 1
	global_store_dwordx2 v[6:7], v[2:3], off
	v_mov_b32_e32 v0, s4
	v_mov_b32_e32 v1, s5
	s_waitcnt vmcnt(0)
	global_atomic_cmpswap_x2 v[0:1], v8, v[0:3], s[10:11] offset:24 glc
	s_waitcnt vmcnt(0)
	v_cmp_eq_u64_e32 vcc, v[0:1], v[2:3]
	v_mov_b32_e32 v3, v1
	s_or_b64 s[6:7], vcc, s[6:7]
	v_mov_b32_e32 v2, v0
	s_andn2_b64 exec, exec, s[6:7]
	s_cbranch_execnz .LBB2_24
.LBB2_25:
	s_or_b64 exec, exec, s[12:13]
	s_lshr_b32 s6, s33, 6
	s_mov_b64 s[4:5], 0
.LBB2_26:                               ; =>This Inner Loop Header: Depth=1
	v_mov_b32_e32 v0, s6
	buffer_load_ubyte v1, v0, s[0:3], 0 offen
	s_add_i32 s6, s6, 1
	v_mov_b32_e32 v0, s6
	s_waitcnt vmcnt(0)
	v_cmp_eq_u16_e32 vcc, 0, v1
	s_or_b64 s[4:5], vcc, s[4:5]
	s_andn2_b64 exec, exec, s[4:5]
	s_cbranch_execnz .LBB2_26
; %bb.27:
	s_or_b64 exec, exec, s[4:5]
	s_lshr_b32 s4, s33, 6
	s_cmp_lg_u32 s4, -1
	s_cbranch_scc0 .LBB2_112
; %bb.28:
	v_lshrrev_b32_e64 v1, 6, s33
	v_subrev_u32_e32 v26, v1, v0
	v_ashrrev_i32_e32 v27, 31, v26
	v_and_b32_e32 v34, 2, v4
	v_mov_b32_e32 v29, 0
	v_and_b32_e32 v0, -3, v4
	v_mov_b32_e32 v1, v5
	s_mov_b64 s[12:13], 0
	v_lshrrev_b32_e64 v35, 6, s33
	s_mov_b32 s20, 0
	s_movk_i32 s21, 0x1e0
	v_mov_b32_e32 v8, 2
	v_mov_b32_e32 v9, 1
	s_branch .LBB2_30
.LBB2_29:                               ;   in Loop: Header=BB2_30 Depth=1
	s_or_b64 exec, exec, s[6:7]
	v_sub_co_u32_e32 v26, vcc, v26, v36
	v_subb_co_u32_e32 v27, vcc, v27, v37, vcc
	v_cmp_eq_u64_e32 vcc, 0, v[26:27]
	v_add_u32_e32 v35, v35, v36
	s_or_b64 s[12:13], vcc, s[12:13]
	s_andn2_b64 exec, exec, s[12:13]
	s_cbranch_execz .LBB2_113
.LBB2_30:                               ; =>This Loop Header: Depth=1
                                        ;     Child Loop BB2_33 Depth 2
                                        ;     Child Loop BB2_41 Depth 2
	;; [unrolled: 1-line block ×11, first 2 shown]
	v_cmp_gt_u64_e32 vcc, 56, v[26:27]
	v_cmp_gt_u64_e64 s[4:5], 8, v[26:27]
	v_cndmask_b32_e32 v36, 56, v26, vcc
	v_add_u32_e32 v7, 8, v35
	s_and_saveexec_b64 s[6:7], s[4:5]
	s_xor_b64 s[6:7], exec, s[6:7]
	s_cbranch_execz .LBB2_36
; %bb.31:                               ;   in Loop: Header=BB2_30 Depth=1
	v_mov_b32_e32 v2, 0
	v_cmp_ne_u64_e64 s[4:5], 0, v[26:27]
	v_mov_b32_e32 v3, 0
	s_and_saveexec_b64 s[14:15], s[4:5]
	s_cbranch_execz .LBB2_35
; %bb.32:                               ;   in Loop: Header=BB2_30 Depth=1
	v_mov_b32_e32 v2, 0
	s_mov_b32 s22, 0
	s_mov_b64 s[16:17], 0
	v_mov_b32_e32 v3, 0
	s_mov_b64 s[18:19], 0
.LBB2_33:                               ;   Parent Loop BB2_30 Depth=1
                                        ; =>  This Inner Loop Header: Depth=2
	v_add_u32_e32 v6, s22, v35
	buffer_load_ubyte v6, v6, s[0:3], 0 offen
	v_mov_b32_e32 v7, s20
	s_add_i32 s22, s22, 1
	v_cmp_eq_u32_e64 s[4:5], s22, v36
	s_waitcnt vmcnt(0)
	v_and_b32_e32 v6, 0xffff, v6
	v_lshlrev_b64 v[6:7], s18, v[6:7]
	s_add_u32 s18, s18, 8
	s_addc_u32 s19, s19, 0
	v_or_b32_e32 v3, v7, v3
	s_or_b64 s[16:17], s[4:5], s[16:17]
	v_or_b32_e32 v2, v6, v2
	s_andn2_b64 exec, exec, s[16:17]
	s_cbranch_execnz .LBB2_33
; %bb.34:                               ;   in Loop: Header=BB2_30 Depth=1
	s_or_b64 exec, exec, s[16:17]
.LBB2_35:                               ;   in Loop: Header=BB2_30 Depth=1
	s_or_b64 exec, exec, s[14:15]
	v_mov_b32_e32 v7, v35
.LBB2_36:                               ;   in Loop: Header=BB2_30 Depth=1
	s_or_saveexec_b64 s[4:5], s[6:7]
	v_mov_b32_e32 v12, 0
	s_xor_b64 exec, exec, s[4:5]
	s_cbranch_execz .LBB2_38
; %bb.37:                               ;   in Loop: Header=BB2_30 Depth=1
	buffer_load_dword v2, v35, s[0:3], 0 offen
	buffer_load_dword v3, v35, s[0:3], 0 offen offset:4
	v_add_u32_e32 v12, -8, v36
.LBB2_38:                               ;   in Loop: Header=BB2_30 Depth=1
	s_or_b64 exec, exec, s[4:5]
	v_cmp_gt_u32_e64 s[4:5], 8, v12
	v_add_u32_e32 v6, 8, v7
                                        ; implicit-def: $vgpr10_vgpr11
	s_and_saveexec_b64 s[6:7], s[4:5]
	s_xor_b64 s[6:7], exec, s[6:7]
	s_cbranch_execz .LBB2_44
; %bb.39:                               ;   in Loop: Header=BB2_30 Depth=1
	v_mov_b32_e32 v10, 0
	v_mov_b32_e32 v11, 0
	v_cmp_ne_u32_e64 s[4:5], 0, v12
	s_and_saveexec_b64 s[14:15], s[4:5]
	s_cbranch_execz .LBB2_43
; %bb.40:                               ;   in Loop: Header=BB2_30 Depth=1
	v_mov_b32_e32 v10, 0
	s_mov_b32 s22, 0
	s_mov_b64 s[16:17], 0
	v_mov_b32_e32 v11, 0
	s_mov_b64 s[18:19], 0
.LBB2_41:                               ;   Parent Loop BB2_30 Depth=1
                                        ; =>  This Inner Loop Header: Depth=2
	v_add_u32_e32 v6, s22, v7
	buffer_load_ubyte v6, v6, s[0:3], 0 offen
	v_mov_b32_e32 v14, s20
	s_add_i32 s22, s22, 1
	v_cmp_eq_u32_e64 s[4:5], s22, v12
	s_waitcnt vmcnt(0)
	v_and_b32_e32 v13, 0xffff, v6
	v_lshlrev_b64 v[13:14], s18, v[13:14]
	s_add_u32 s18, s18, 8
	s_addc_u32 s19, s19, 0
	v_or_b32_e32 v11, v14, v11
	s_or_b64 s[16:17], s[4:5], s[16:17]
	v_or_b32_e32 v10, v13, v10
	s_andn2_b64 exec, exec, s[16:17]
	s_cbranch_execnz .LBB2_41
; %bb.42:                               ;   in Loop: Header=BB2_30 Depth=1
	s_or_b64 exec, exec, s[16:17]
.LBB2_43:                               ;   in Loop: Header=BB2_30 Depth=1
	s_or_b64 exec, exec, s[14:15]
	v_mov_b32_e32 v6, v7
                                        ; implicit-def: $vgpr12
.LBB2_44:                               ;   in Loop: Header=BB2_30 Depth=1
	s_or_saveexec_b64 s[4:5], s[6:7]
	v_mov_b32_e32 v14, 0
	s_xor_b64 exec, exec, s[4:5]
	s_cbranch_execz .LBB2_46
; %bb.45:                               ;   in Loop: Header=BB2_30 Depth=1
	buffer_load_dword v10, v7, s[0:3], 0 offen
	buffer_load_dword v11, v7, s[0:3], 0 offen offset:4
	v_add_u32_e32 v14, -8, v12
.LBB2_46:                               ;   in Loop: Header=BB2_30 Depth=1
	s_or_b64 exec, exec, s[4:5]
	v_cmp_gt_u32_e64 s[4:5], 8, v14
	v_add_u32_e32 v7, 8, v6
	s_and_saveexec_b64 s[6:7], s[4:5]
	s_xor_b64 s[6:7], exec, s[6:7]
	s_cbranch_execz .LBB2_52
; %bb.47:                               ;   in Loop: Header=BB2_30 Depth=1
	v_mov_b32_e32 v12, 0
	v_mov_b32_e32 v13, 0
	v_cmp_ne_u32_e64 s[4:5], 0, v14
	s_and_saveexec_b64 s[14:15], s[4:5]
	s_cbranch_execz .LBB2_51
; %bb.48:                               ;   in Loop: Header=BB2_30 Depth=1
	v_mov_b32_e32 v12, 0
	s_mov_b32 s22, 0
	s_mov_b64 s[16:17], 0
	v_mov_b32_e32 v13, 0
	s_mov_b64 s[18:19], 0
.LBB2_49:                               ;   Parent Loop BB2_30 Depth=1
                                        ; =>  This Inner Loop Header: Depth=2
	v_add_u32_e32 v7, s22, v6
	buffer_load_ubyte v7, v7, s[0:3], 0 offen
	v_mov_b32_e32 v16, s20
	s_add_i32 s22, s22, 1
	v_cmp_eq_u32_e64 s[4:5], s22, v14
	s_waitcnt vmcnt(0)
	v_and_b32_e32 v15, 0xffff, v7
	v_lshlrev_b64 v[15:16], s18, v[15:16]
	s_add_u32 s18, s18, 8
	s_addc_u32 s19, s19, 0
	v_or_b32_e32 v13, v16, v13
	s_or_b64 s[16:17], s[4:5], s[16:17]
	v_or_b32_e32 v12, v15, v12
	s_andn2_b64 exec, exec, s[16:17]
	s_cbranch_execnz .LBB2_49
; %bb.50:                               ;   in Loop: Header=BB2_30 Depth=1
	s_or_b64 exec, exec, s[16:17]
.LBB2_51:                               ;   in Loop: Header=BB2_30 Depth=1
	s_or_b64 exec, exec, s[14:15]
	v_mov_b32_e32 v7, v6
                                        ; implicit-def: $vgpr14
.LBB2_52:                               ;   in Loop: Header=BB2_30 Depth=1
	s_or_saveexec_b64 s[4:5], s[6:7]
	v_mov_b32_e32 v16, 0
	s_xor_b64 exec, exec, s[4:5]
	s_cbranch_execz .LBB2_54
; %bb.53:                               ;   in Loop: Header=BB2_30 Depth=1
	buffer_load_dword v12, v6, s[0:3], 0 offen
	buffer_load_dword v13, v6, s[0:3], 0 offen offset:4
	v_add_u32_e32 v16, -8, v14
.LBB2_54:                               ;   in Loop: Header=BB2_30 Depth=1
	s_or_b64 exec, exec, s[4:5]
	v_cmp_gt_u32_e64 s[4:5], 8, v16
	v_add_u32_e32 v6, 8, v7
                                        ; implicit-def: $vgpr14_vgpr15
	s_and_saveexec_b64 s[6:7], s[4:5]
	s_xor_b64 s[6:7], exec, s[6:7]
	s_cbranch_execz .LBB2_60
; %bb.55:                               ;   in Loop: Header=BB2_30 Depth=1
	v_mov_b32_e32 v14, 0
	v_mov_b32_e32 v15, 0
	v_cmp_ne_u32_e64 s[4:5], 0, v16
	s_and_saveexec_b64 s[14:15], s[4:5]
	s_cbranch_execz .LBB2_59
; %bb.56:                               ;   in Loop: Header=BB2_30 Depth=1
	v_mov_b32_e32 v14, 0
	s_mov_b32 s22, 0
	s_mov_b64 s[16:17], 0
	v_mov_b32_e32 v15, 0
	s_mov_b64 s[18:19], 0
.LBB2_57:                               ;   Parent Loop BB2_30 Depth=1
                                        ; =>  This Inner Loop Header: Depth=2
	v_add_u32_e32 v6, s22, v7
	buffer_load_ubyte v6, v6, s[0:3], 0 offen
	v_mov_b32_e32 v18, s20
	s_add_i32 s22, s22, 1
	v_cmp_eq_u32_e64 s[4:5], s22, v16
	s_waitcnt vmcnt(0)
	v_and_b32_e32 v17, 0xffff, v6
	v_lshlrev_b64 v[17:18], s18, v[17:18]
	s_add_u32 s18, s18, 8
	s_addc_u32 s19, s19, 0
	v_or_b32_e32 v15, v18, v15
	s_or_b64 s[16:17], s[4:5], s[16:17]
	v_or_b32_e32 v14, v17, v14
	s_andn2_b64 exec, exec, s[16:17]
	s_cbranch_execnz .LBB2_57
; %bb.58:                               ;   in Loop: Header=BB2_30 Depth=1
	s_or_b64 exec, exec, s[16:17]
.LBB2_59:                               ;   in Loop: Header=BB2_30 Depth=1
	s_or_b64 exec, exec, s[14:15]
	v_mov_b32_e32 v6, v7
                                        ; implicit-def: $vgpr16
.LBB2_60:                               ;   in Loop: Header=BB2_30 Depth=1
	s_or_saveexec_b64 s[4:5], s[6:7]
	v_mov_b32_e32 v18, 0
	s_xor_b64 exec, exec, s[4:5]
	s_cbranch_execz .LBB2_62
; %bb.61:                               ;   in Loop: Header=BB2_30 Depth=1
	buffer_load_dword v14, v7, s[0:3], 0 offen
	buffer_load_dword v15, v7, s[0:3], 0 offen offset:4
	v_add_u32_e32 v18, -8, v16
.LBB2_62:                               ;   in Loop: Header=BB2_30 Depth=1
	s_or_b64 exec, exec, s[4:5]
	v_cmp_gt_u32_e64 s[4:5], 8, v18
	v_add_u32_e32 v7, 8, v6
	s_and_saveexec_b64 s[6:7], s[4:5]
	s_xor_b64 s[6:7], exec, s[6:7]
	s_cbranch_execz .LBB2_68
; %bb.63:                               ;   in Loop: Header=BB2_30 Depth=1
	v_mov_b32_e32 v16, 0
	v_mov_b32_e32 v17, 0
	v_cmp_ne_u32_e64 s[4:5], 0, v18
	s_and_saveexec_b64 s[14:15], s[4:5]
	s_cbranch_execz .LBB2_67
; %bb.64:                               ;   in Loop: Header=BB2_30 Depth=1
	v_mov_b32_e32 v16, 0
	s_mov_b32 s22, 0
	s_mov_b64 s[16:17], 0
	v_mov_b32_e32 v17, 0
	s_mov_b64 s[18:19], 0
.LBB2_65:                               ;   Parent Loop BB2_30 Depth=1
                                        ; =>  This Inner Loop Header: Depth=2
	v_add_u32_e32 v7, s22, v6
	buffer_load_ubyte v7, v7, s[0:3], 0 offen
	v_mov_b32_e32 v20, s20
	s_add_i32 s22, s22, 1
	v_cmp_eq_u32_e64 s[4:5], s22, v18
	s_waitcnt vmcnt(0)
	v_and_b32_e32 v19, 0xffff, v7
	v_lshlrev_b64 v[19:20], s18, v[19:20]
	s_add_u32 s18, s18, 8
	s_addc_u32 s19, s19, 0
	v_or_b32_e32 v17, v20, v17
	s_or_b64 s[16:17], s[4:5], s[16:17]
	v_or_b32_e32 v16, v19, v16
	s_andn2_b64 exec, exec, s[16:17]
	s_cbranch_execnz .LBB2_65
; %bb.66:                               ;   in Loop: Header=BB2_30 Depth=1
	s_or_b64 exec, exec, s[16:17]
.LBB2_67:                               ;   in Loop: Header=BB2_30 Depth=1
	s_or_b64 exec, exec, s[14:15]
	v_mov_b32_e32 v7, v6
                                        ; implicit-def: $vgpr18
.LBB2_68:                               ;   in Loop: Header=BB2_30 Depth=1
	s_or_saveexec_b64 s[4:5], s[6:7]
	v_mov_b32_e32 v20, 0
	s_xor_b64 exec, exec, s[4:5]
	s_cbranch_execz .LBB2_70
; %bb.69:                               ;   in Loop: Header=BB2_30 Depth=1
	buffer_load_dword v16, v6, s[0:3], 0 offen
	buffer_load_dword v17, v6, s[0:3], 0 offen offset:4
	v_add_u32_e32 v20, -8, v18
.LBB2_70:                               ;   in Loop: Header=BB2_30 Depth=1
	s_or_b64 exec, exec, s[4:5]
	v_cmp_gt_u32_e64 s[4:5], 8, v20
	v_add_u32_e32 v6, 8, v7
                                        ; implicit-def: $vgpr18_vgpr19
	s_and_saveexec_b64 s[6:7], s[4:5]
	s_xor_b64 s[6:7], exec, s[6:7]
	s_cbranch_execz .LBB2_76
; %bb.71:                               ;   in Loop: Header=BB2_30 Depth=1
	v_mov_b32_e32 v18, 0
	v_mov_b32_e32 v19, 0
	v_cmp_ne_u32_e64 s[4:5], 0, v20
	s_and_saveexec_b64 s[14:15], s[4:5]
	s_cbranch_execz .LBB2_75
; %bb.72:                               ;   in Loop: Header=BB2_30 Depth=1
	v_mov_b32_e32 v18, 0
	s_mov_b32 s22, 0
	s_mov_b64 s[16:17], 0
	v_mov_b32_e32 v19, 0
	s_mov_b64 s[18:19], 0
.LBB2_73:                               ;   Parent Loop BB2_30 Depth=1
                                        ; =>  This Inner Loop Header: Depth=2
	v_add_u32_e32 v6, s22, v7
	buffer_load_ubyte v6, v6, s[0:3], 0 offen
	v_mov_b32_e32 v22, s20
	s_add_i32 s22, s22, 1
	v_cmp_eq_u32_e64 s[4:5], s22, v20
	s_waitcnt vmcnt(0)
	v_and_b32_e32 v21, 0xffff, v6
	v_lshlrev_b64 v[21:22], s18, v[21:22]
	s_add_u32 s18, s18, 8
	s_addc_u32 s19, s19, 0
	v_or_b32_e32 v19, v22, v19
	s_or_b64 s[16:17], s[4:5], s[16:17]
	v_or_b32_e32 v18, v21, v18
	s_andn2_b64 exec, exec, s[16:17]
	s_cbranch_execnz .LBB2_73
; %bb.74:                               ;   in Loop: Header=BB2_30 Depth=1
	s_or_b64 exec, exec, s[16:17]
.LBB2_75:                               ;   in Loop: Header=BB2_30 Depth=1
	s_or_b64 exec, exec, s[14:15]
	v_mov_b32_e32 v6, v7
                                        ; implicit-def: $vgpr20
.LBB2_76:                               ;   in Loop: Header=BB2_30 Depth=1
	s_or_saveexec_b64 s[4:5], s[6:7]
	v_mov_b32_e32 v22, 0
	s_xor_b64 exec, exec, s[4:5]
	s_cbranch_execz .LBB2_78
; %bb.77:                               ;   in Loop: Header=BB2_30 Depth=1
	buffer_load_dword v18, v7, s[0:3], 0 offen
	buffer_load_dword v19, v7, s[0:3], 0 offen offset:4
	v_add_u32_e32 v22, -8, v20
.LBB2_78:                               ;   in Loop: Header=BB2_30 Depth=1
	s_or_b64 exec, exec, s[4:5]
	v_cmp_gt_u32_e64 s[4:5], 8, v22
	s_and_saveexec_b64 s[6:7], s[4:5]
	s_xor_b64 s[6:7], exec, s[6:7]
	s_cbranch_execz .LBB2_84
; %bb.79:                               ;   in Loop: Header=BB2_30 Depth=1
	v_mov_b32_e32 v20, 0
	v_mov_b32_e32 v21, 0
	v_cmp_ne_u32_e64 s[4:5], 0, v22
	s_and_saveexec_b64 s[14:15], s[4:5]
	s_cbranch_execz .LBB2_83
; %bb.80:                               ;   in Loop: Header=BB2_30 Depth=1
	v_mov_b32_e32 v20, 0
	s_mov_b64 s[16:17], 0
	v_mov_b32_e32 v21, 0
	s_mov_b64 s[18:19], 0
.LBB2_81:                               ;   Parent Loop BB2_30 Depth=1
                                        ; =>  This Inner Loop Header: Depth=2
	buffer_load_ubyte v7, v6, s[0:3], 0 offen
	v_mov_b32_e32 v24, s20
	v_add_u32_e32 v22, -1, v22
	v_cmp_eq_u32_e64 s[4:5], 0, v22
	v_add_u32_e32 v6, 1, v6
	s_waitcnt vmcnt(0)
	v_and_b32_e32 v23, 0xffff, v7
	v_lshlrev_b64 v[23:24], s18, v[23:24]
	s_add_u32 s18, s18, 8
	s_addc_u32 s19, s19, 0
	v_or_b32_e32 v21, v24, v21
	s_or_b64 s[16:17], s[4:5], s[16:17]
	v_or_b32_e32 v20, v23, v20
	s_andn2_b64 exec, exec, s[16:17]
	s_cbranch_execnz .LBB2_81
; %bb.82:                               ;   in Loop: Header=BB2_30 Depth=1
	s_or_b64 exec, exec, s[16:17]
.LBB2_83:                               ;   in Loop: Header=BB2_30 Depth=1
	s_or_b64 exec, exec, s[14:15]
                                        ; implicit-def: $vgpr6
.LBB2_84:                               ;   in Loop: Header=BB2_30 Depth=1
	s_andn2_saveexec_b64 s[4:5], s[6:7]
	s_cbranch_execz .LBB2_86
; %bb.85:                               ;   in Loop: Header=BB2_30 Depth=1
	buffer_load_dword v20, v6, s[0:3], 0 offen
	buffer_load_dword v21, v6, s[0:3], 0 offen offset:4
.LBB2_86:                               ;   in Loop: Header=BB2_30 Depth=1
	s_or_b64 exec, exec, s[4:5]
	v_readfirstlane_b32 s4, v32
	v_mov_b32_e32 v6, 0
	v_mov_b32_e32 v7, 0
	v_cmp_eq_u32_e64 s[4:5], s4, v32
	s_and_saveexec_b64 s[14:15], s[4:5]
	s_cbranch_execz .LBB2_92
; %bb.87:                               ;   in Loop: Header=BB2_30 Depth=1
	global_load_dwordx2 v[24:25], v29, s[10:11] offset:24 glc
	s_waitcnt vmcnt(0)
	buffer_wbinvl1_vol
	global_load_dwordx2 v[6:7], v29, s[10:11] offset:40
	global_load_dwordx2 v[22:23], v29, s[10:11]
	s_waitcnt vmcnt(1)
	v_and_b32_e32 v6, v6, v24
	v_and_b32_e32 v7, v7, v25
	v_mul_lo_u32 v7, v7, 24
	v_mul_hi_u32 v28, v6, 24
	v_mul_lo_u32 v6, v6, 24
	v_add_u32_e32 v7, v28, v7
	s_waitcnt vmcnt(0)
	v_add_co_u32_e64 v6, s[6:7], v22, v6
	v_addc_co_u32_e64 v7, s[6:7], v23, v7, s[6:7]
	global_load_dwordx2 v[22:23], v[6:7], off glc
	s_waitcnt vmcnt(0)
	global_atomic_cmpswap_x2 v[6:7], v29, v[22:25], s[10:11] offset:24 glc
	s_waitcnt vmcnt(0)
	buffer_wbinvl1_vol
	v_cmp_ne_u64_e64 s[6:7], v[6:7], v[24:25]
	s_and_saveexec_b64 s[16:17], s[6:7]
	s_cbranch_execz .LBB2_91
; %bb.88:                               ;   in Loop: Header=BB2_30 Depth=1
	s_mov_b64 s[18:19], 0
.LBB2_89:                               ;   Parent Loop BB2_30 Depth=1
                                        ; =>  This Inner Loop Header: Depth=2
	s_sleep 1
	global_load_dwordx2 v[22:23], v29, s[10:11] offset:40
	global_load_dwordx2 v[30:31], v29, s[10:11]
	v_mov_b32_e32 v25, v7
	v_mov_b32_e32 v24, v6
	s_waitcnt vmcnt(1)
	v_and_b32_e32 v6, v22, v24
	s_waitcnt vmcnt(0)
	v_mad_u64_u32 v[6:7], s[6:7], v6, 24, v[30:31]
	v_and_b32_e32 v22, v23, v25
	v_mad_u64_u32 v[22:23], s[6:7], v22, 24, v[7:8]
	v_mov_b32_e32 v7, v22
	global_load_dwordx2 v[22:23], v[6:7], off glc
	s_waitcnt vmcnt(0)
	global_atomic_cmpswap_x2 v[6:7], v29, v[22:25], s[10:11] offset:24 glc
	s_waitcnt vmcnt(0)
	buffer_wbinvl1_vol
	v_cmp_eq_u64_e64 s[6:7], v[6:7], v[24:25]
	s_or_b64 s[18:19], s[6:7], s[18:19]
	s_andn2_b64 exec, exec, s[18:19]
	s_cbranch_execnz .LBB2_89
; %bb.90:                               ;   in Loop: Header=BB2_30 Depth=1
	s_or_b64 exec, exec, s[18:19]
.LBB2_91:                               ;   in Loop: Header=BB2_30 Depth=1
	s_or_b64 exec, exec, s[16:17]
.LBB2_92:                               ;   in Loop: Header=BB2_30 Depth=1
	s_or_b64 exec, exec, s[14:15]
	global_load_dwordx2 v[30:31], v29, s[10:11] offset:40
	global_load_dwordx4 v[22:25], v29, s[10:11]
	v_readfirstlane_b32 s15, v7
	v_readfirstlane_b32 s14, v6
	s_mov_b64 s[16:17], exec
	s_waitcnt vmcnt(1)
	v_readfirstlane_b32 s6, v30
	v_readfirstlane_b32 s7, v31
	s_and_b64 s[18:19], s[6:7], s[14:15]
	s_mul_i32 s6, s19, 24
	s_mul_hi_u32 s7, s18, 24
	s_mul_i32 s22, s18, 24
	s_add_i32 s6, s7, s6
	v_mov_b32_e32 v6, s6
	s_waitcnt vmcnt(0)
	v_add_co_u32_e64 v30, s[6:7], s22, v22
	v_addc_co_u32_e64 v31, s[6:7], v23, v6, s[6:7]
	s_and_saveexec_b64 s[6:7], s[4:5]
	s_cbranch_execz .LBB2_94
; %bb.93:                               ;   in Loop: Header=BB2_30 Depth=1
	v_mov_b32_e32 v6, s16
	v_mov_b32_e32 v7, s17
	global_store_dwordx4 v[30:31], v[6:9], off offset:8
.LBB2_94:                               ;   in Loop: Header=BB2_30 Depth=1
	s_or_b64 exec, exec, s[6:7]
	s_lshl_b64 s[6:7], s[18:19], 12
	v_cndmask_b32_e32 v37, 0, v27, vcc
	v_mov_b32_e32 v6, s7
	v_add_co_u32_e32 v24, vcc, s6, v24
	v_addc_co_u32_e32 v25, vcc, v25, v6, vcc
	v_cmp_gt_u64_e32 vcc, 57, v[26:27]
	v_and_b32_e32 v0, 0xffffff1f, v0
	v_cndmask_b32_e32 v6, 0, v34, vcc
	v_lshl_add_u32 v7, v36, 2, 28
	v_or_b32_e32 v0, v0, v6
	v_and_or_b32 v0, v7, s21, v0
	v_readfirstlane_b32 s6, v24
	v_readfirstlane_b32 s7, v25
	s_nop 4
	global_store_dwordx4 v33, v[0:3], s[6:7]
	global_store_dwordx4 v33, v[10:13], s[6:7] offset:16
	global_store_dwordx4 v33, v[14:17], s[6:7] offset:32
	;; [unrolled: 1-line block ×3, first 2 shown]
	s_and_saveexec_b64 s[6:7], s[4:5]
	s_cbranch_execz .LBB2_102
; %bb.95:                               ;   in Loop: Header=BB2_30 Depth=1
	global_load_dwordx2 v[12:13], v29, s[10:11] offset:32 glc
	global_load_dwordx2 v[0:1], v29, s[10:11] offset:40
	v_mov_b32_e32 v10, s14
	v_mov_b32_e32 v11, s15
	s_waitcnt vmcnt(0)
	v_readfirstlane_b32 s16, v0
	v_readfirstlane_b32 s17, v1
	s_and_b64 s[16:17], s[16:17], s[14:15]
	s_mul_i32 s17, s17, 24
	s_mul_hi_u32 s18, s16, 24
	s_mul_i32 s16, s16, 24
	s_add_i32 s17, s18, s17
	v_mov_b32_e32 v0, s17
	v_add_co_u32_e32 v6, vcc, s16, v22
	v_addc_co_u32_e32 v7, vcc, v23, v0, vcc
	global_store_dwordx2 v[6:7], v[12:13], off
	s_waitcnt vmcnt(0)
	global_atomic_cmpswap_x2 v[2:3], v29, v[10:13], s[10:11] offset:32 glc
	s_waitcnt vmcnt(0)
	v_cmp_ne_u64_e32 vcc, v[2:3], v[12:13]
	s_and_saveexec_b64 s[16:17], vcc
	s_cbranch_execz .LBB2_98
; %bb.96:                               ;   in Loop: Header=BB2_30 Depth=1
	s_mov_b64 s[18:19], 0
.LBB2_97:                               ;   Parent Loop BB2_30 Depth=1
                                        ; =>  This Inner Loop Header: Depth=2
	s_sleep 1
	global_store_dwordx2 v[6:7], v[2:3], off
	v_mov_b32_e32 v0, s14
	v_mov_b32_e32 v1, s15
	s_waitcnt vmcnt(0)
	global_atomic_cmpswap_x2 v[0:1], v29, v[0:3], s[10:11] offset:32 glc
	s_waitcnt vmcnt(0)
	v_cmp_eq_u64_e32 vcc, v[0:1], v[2:3]
	v_mov_b32_e32 v3, v1
	s_or_b64 s[18:19], vcc, s[18:19]
	v_mov_b32_e32 v2, v0
	s_andn2_b64 exec, exec, s[18:19]
	s_cbranch_execnz .LBB2_97
.LBB2_98:                               ;   in Loop: Header=BB2_30 Depth=1
	s_or_b64 exec, exec, s[16:17]
	global_load_dwordx2 v[0:1], v29, s[10:11] offset:16
	s_mov_b64 s[18:19], exec
	v_mbcnt_lo_u32_b32 v2, s18, 0
	v_mbcnt_hi_u32_b32 v2, s19, v2
	v_cmp_eq_u32_e32 vcc, 0, v2
	s_and_saveexec_b64 s[16:17], vcc
	s_cbranch_execz .LBB2_100
; %bb.99:                               ;   in Loop: Header=BB2_30 Depth=1
	s_bcnt1_i32_b64 s18, s[18:19]
	v_mov_b32_e32 v28, s18
	s_waitcnt vmcnt(0)
	global_atomic_add_x2 v[0:1], v[28:29], off offset:8
.LBB2_100:                              ;   in Loop: Header=BB2_30 Depth=1
	s_or_b64 exec, exec, s[16:17]
	s_waitcnt vmcnt(0)
	global_load_dwordx2 v[2:3], v[0:1], off offset:16
	s_waitcnt vmcnt(0)
	v_cmp_eq_u64_e32 vcc, 0, v[2:3]
	s_cbranch_vccnz .LBB2_102
; %bb.101:                              ;   in Loop: Header=BB2_30 Depth=1
	global_load_dword v28, v[0:1], off offset:24
	s_waitcnt vmcnt(0)
	v_readfirstlane_b32 s16, v28
	s_and_b32 m0, s16, 0xffffff
	global_store_dwordx2 v[2:3], v[28:29], off
	s_sendmsg sendmsg(MSG_INTERRUPT)
.LBB2_102:                              ;   in Loop: Header=BB2_30 Depth=1
	s_or_b64 exec, exec, s[6:7]
	v_add_co_u32_e32 v0, vcc, v24, v33
	v_addc_co_u32_e32 v1, vcc, 0, v25, vcc
	s_branch .LBB2_106
.LBB2_103:                              ;   in Loop: Header=BB2_106 Depth=2
	s_or_b64 exec, exec, s[6:7]
	v_readfirstlane_b32 s6, v2
	s_cmp_eq_u32 s6, 0
	s_cbranch_scc1 .LBB2_105
; %bb.104:                              ;   in Loop: Header=BB2_106 Depth=2
	s_sleep 1
	s_cbranch_execnz .LBB2_106
	s_branch .LBB2_108
.LBB2_105:                              ;   in Loop: Header=BB2_30 Depth=1
	s_branch .LBB2_108
.LBB2_106:                              ;   Parent Loop BB2_30 Depth=1
                                        ; =>  This Inner Loop Header: Depth=2
	v_mov_b32_e32 v2, 1
	s_and_saveexec_b64 s[6:7], s[4:5]
	s_cbranch_execz .LBB2_103
; %bb.107:                              ;   in Loop: Header=BB2_106 Depth=2
	global_load_dword v2, v[30:31], off offset:20 glc
	s_waitcnt vmcnt(0)
	buffer_wbinvl1_vol
	v_and_b32_e32 v2, 1, v2
	s_branch .LBB2_103
.LBB2_108:                              ;   in Loop: Header=BB2_30 Depth=1
	global_load_dwordx2 v[0:1], v[0:1], off
	s_and_saveexec_b64 s[6:7], s[4:5]
	s_cbranch_execz .LBB2_29
; %bb.109:                              ;   in Loop: Header=BB2_30 Depth=1
	global_load_dwordx2 v[2:3], v29, s[10:11] offset:40
	global_load_dwordx2 v[14:15], v29, s[10:11] offset:24 glc
	global_load_dwordx2 v[6:7], v29, s[10:11]
	s_waitcnt vmcnt(2)
	v_readfirstlane_b32 s16, v2
	v_readfirstlane_b32 s17, v3
	s_add_u32 s18, s16, 1
	s_addc_u32 s19, s17, 0
	s_add_u32 s4, s18, s14
	s_addc_u32 s5, s19, s15
	s_cmp_eq_u64 s[4:5], 0
	s_cselect_b32 s5, s19, s5
	s_cselect_b32 s4, s18, s4
	s_and_b64 s[14:15], s[4:5], s[16:17]
	s_mul_i32 s15, s15, 24
	s_mul_hi_u32 s16, s14, 24
	s_mul_i32 s14, s14, 24
	s_add_i32 s15, s16, s15
	v_mov_b32_e32 v3, s15
	s_waitcnt vmcnt(0)
	v_add_co_u32_e32 v2, vcc, s14, v6
	v_addc_co_u32_e32 v3, vcc, v7, v3, vcc
	v_mov_b32_e32 v12, s4
	global_store_dwordx2 v[2:3], v[14:15], off
	v_mov_b32_e32 v13, s5
	s_waitcnt vmcnt(0)
	global_atomic_cmpswap_x2 v[12:13], v29, v[12:15], s[10:11] offset:24 glc
	s_waitcnt vmcnt(0)
	v_cmp_ne_u64_e32 vcc, v[12:13], v[14:15]
	s_and_b64 exec, exec, vcc
	s_cbranch_execz .LBB2_29
; %bb.110:                              ;   in Loop: Header=BB2_30 Depth=1
	s_mov_b64 s[14:15], 0
.LBB2_111:                              ;   Parent Loop BB2_30 Depth=1
                                        ; =>  This Inner Loop Header: Depth=2
	s_sleep 1
	global_store_dwordx2 v[2:3], v[12:13], off
	v_mov_b32_e32 v10, s4
	v_mov_b32_e32 v11, s5
	s_waitcnt vmcnt(0)
	global_atomic_cmpswap_x2 v[6:7], v29, v[10:13], s[10:11] offset:24 glc
	s_waitcnt vmcnt(0)
	v_cmp_eq_u64_e32 vcc, v[6:7], v[12:13]
	v_mov_b32_e32 v13, v7
	s_or_b64 s[14:15], vcc, s[14:15]
	v_mov_b32_e32 v12, v6
	s_andn2_b64 exec, exec, s[14:15]
	s_cbranch_execnz .LBB2_111
	s_branch .LBB2_29
.LBB2_112:
                                        ; implicit-def: $vgpr0_vgpr1
	s_cbranch_execnz .LBB2_114
	s_branch .LBB2_140
.LBB2_113:
	s_or_b64 exec, exec, s[12:13]
	s_branch .LBB2_140
.LBB2_114:
	v_readfirstlane_b32 s4, v32
	v_mov_b32_e32 v7, 0
	v_mov_b32_e32 v8, 0
	v_cmp_eq_u32_e64 s[4:5], s4, v32
	s_and_saveexec_b64 s[6:7], s[4:5]
	s_cbranch_execz .LBB2_120
; %bb.115:
	s_waitcnt vmcnt(0)
	v_mov_b32_e32 v0, 0
	global_load_dwordx2 v[9:10], v0, s[10:11] offset:24 glc
	s_waitcnt vmcnt(0)
	buffer_wbinvl1_vol
	global_load_dwordx2 v[1:2], v0, s[10:11] offset:40
	global_load_dwordx2 v[6:7], v0, s[10:11]
	s_waitcnt vmcnt(1)
	v_and_b32_e32 v1, v1, v9
	v_and_b32_e32 v2, v2, v10
	v_mul_lo_u32 v2, v2, 24
	v_mul_hi_u32 v3, v1, 24
	v_mul_lo_u32 v1, v1, 24
	v_add_u32_e32 v2, v3, v2
	s_waitcnt vmcnt(0)
	v_add_co_u32_e32 v1, vcc, v6, v1
	v_addc_co_u32_e32 v2, vcc, v7, v2, vcc
	global_load_dwordx2 v[7:8], v[1:2], off glc
	s_waitcnt vmcnt(0)
	global_atomic_cmpswap_x2 v[7:8], v0, v[7:10], s[10:11] offset:24 glc
	s_waitcnt vmcnt(0)
	buffer_wbinvl1_vol
	v_cmp_ne_u64_e32 vcc, v[7:8], v[9:10]
	s_and_saveexec_b64 s[12:13], vcc
	s_cbranch_execz .LBB2_119
; %bb.116:
	s_mov_b64 s[14:15], 0
.LBB2_117:                              ; =>This Inner Loop Header: Depth=1
	s_sleep 1
	global_load_dwordx2 v[1:2], v0, s[10:11] offset:40
	global_load_dwordx2 v[11:12], v0, s[10:11]
	v_mov_b32_e32 v10, v8
	v_mov_b32_e32 v9, v7
	s_waitcnt vmcnt(1)
	v_and_b32_e32 v1, v1, v9
	s_waitcnt vmcnt(0)
	v_mad_u64_u32 v[6:7], s[16:17], v1, 24, v[11:12]
	v_and_b32_e32 v2, v2, v10
	v_mov_b32_e32 v1, v7
	v_mad_u64_u32 v[1:2], s[16:17], v2, 24, v[1:2]
	v_mov_b32_e32 v7, v1
	global_load_dwordx2 v[7:8], v[6:7], off glc
	s_waitcnt vmcnt(0)
	global_atomic_cmpswap_x2 v[7:8], v0, v[7:10], s[10:11] offset:24 glc
	s_waitcnt vmcnt(0)
	buffer_wbinvl1_vol
	v_cmp_eq_u64_e32 vcc, v[7:8], v[9:10]
	s_or_b64 s[14:15], vcc, s[14:15]
	s_andn2_b64 exec, exec, s[14:15]
	s_cbranch_execnz .LBB2_117
; %bb.118:
	s_or_b64 exec, exec, s[14:15]
.LBB2_119:
	s_or_b64 exec, exec, s[12:13]
.LBB2_120:
	s_or_b64 exec, exec, s[6:7]
	v_mov_b32_e32 v6, 0
	global_load_dwordx2 v[9:10], v6, s[10:11] offset:40
	global_load_dwordx4 v[0:3], v6, s[10:11]
	v_readfirstlane_b32 s7, v8
	v_readfirstlane_b32 s6, v7
	s_mov_b64 s[12:13], exec
	s_waitcnt vmcnt(1)
	v_readfirstlane_b32 s14, v9
	v_readfirstlane_b32 s15, v10
	s_and_b64 s[14:15], s[14:15], s[6:7]
	s_mul_i32 s16, s15, 24
	s_mul_hi_u32 s17, s14, 24
	s_mul_i32 s18, s14, 24
	s_add_i32 s16, s17, s16
	v_mov_b32_e32 v7, s16
	s_waitcnt vmcnt(0)
	v_add_co_u32_e32 v8, vcc, s18, v0
	v_addc_co_u32_e32 v9, vcc, v1, v7, vcc
	s_and_saveexec_b64 s[16:17], s[4:5]
	s_cbranch_execz .LBB2_122
; %bb.121:
	v_mov_b32_e32 v10, s12
	v_mov_b32_e32 v11, s13
	;; [unrolled: 1-line block ×4, first 2 shown]
	global_store_dwordx4 v[8:9], v[10:13], off offset:8
.LBB2_122:
	s_or_b64 exec, exec, s[16:17]
	s_lshl_b64 s[12:13], s[14:15], 12
	v_mov_b32_e32 v7, s13
	v_add_co_u32_e32 v2, vcc, s12, v2
	v_addc_co_u32_e32 v3, vcc, v3, v7, vcc
	s_movk_i32 s12, 0xff1f
	v_and_or_b32 v4, v4, s12, 32
	v_add_co_u32_e32 v10, vcc, v2, v33
	s_mov_b32 s12, 0
	v_mov_b32_e32 v7, v6
	v_readfirstlane_b32 s16, v2
	v_readfirstlane_b32 s17, v3
	v_addc_co_u32_e32 v11, vcc, 0, v3, vcc
	s_mov_b32 s13, s12
	s_mov_b32 s14, s12
	;; [unrolled: 1-line block ×3, first 2 shown]
	s_nop 0
	global_store_dwordx4 v33, v[4:7], s[16:17]
	v_mov_b32_e32 v2, s12
	v_mov_b32_e32 v3, s13
	;; [unrolled: 1-line block ×4, first 2 shown]
	global_store_dwordx4 v33, v[2:5], s[16:17] offset:16
	global_store_dwordx4 v33, v[2:5], s[16:17] offset:32
	;; [unrolled: 1-line block ×3, first 2 shown]
	s_and_saveexec_b64 s[12:13], s[4:5]
	s_cbranch_execz .LBB2_130
; %bb.123:
	v_mov_b32_e32 v6, 0
	global_load_dwordx2 v[14:15], v6, s[10:11] offset:32 glc
	global_load_dwordx2 v[2:3], v6, s[10:11] offset:40
	v_mov_b32_e32 v12, s6
	v_mov_b32_e32 v13, s7
	s_waitcnt vmcnt(0)
	v_readfirstlane_b32 s14, v2
	v_readfirstlane_b32 s15, v3
	s_and_b64 s[14:15], s[14:15], s[6:7]
	s_mul_i32 s15, s15, 24
	s_mul_hi_u32 s16, s14, 24
	s_mul_i32 s14, s14, 24
	s_add_i32 s15, s16, s15
	v_mov_b32_e32 v2, s15
	v_add_co_u32_e32 v4, vcc, s14, v0
	v_addc_co_u32_e32 v5, vcc, v1, v2, vcc
	global_store_dwordx2 v[4:5], v[14:15], off
	s_waitcnt vmcnt(0)
	global_atomic_cmpswap_x2 v[2:3], v6, v[12:15], s[10:11] offset:32 glc
	s_waitcnt vmcnt(0)
	v_cmp_ne_u64_e32 vcc, v[2:3], v[14:15]
	s_and_saveexec_b64 s[14:15], vcc
	s_cbranch_execz .LBB2_126
; %bb.124:
	s_mov_b64 s[16:17], 0
.LBB2_125:                              ; =>This Inner Loop Header: Depth=1
	s_sleep 1
	global_store_dwordx2 v[4:5], v[2:3], off
	v_mov_b32_e32 v0, s6
	v_mov_b32_e32 v1, s7
	s_waitcnt vmcnt(0)
	global_atomic_cmpswap_x2 v[0:1], v6, v[0:3], s[10:11] offset:32 glc
	s_waitcnt vmcnt(0)
	v_cmp_eq_u64_e32 vcc, v[0:1], v[2:3]
	v_mov_b32_e32 v3, v1
	s_or_b64 s[16:17], vcc, s[16:17]
	v_mov_b32_e32 v2, v0
	s_andn2_b64 exec, exec, s[16:17]
	s_cbranch_execnz .LBB2_125
.LBB2_126:
	s_or_b64 exec, exec, s[14:15]
	v_mov_b32_e32 v3, 0
	global_load_dwordx2 v[0:1], v3, s[10:11] offset:16
	s_mov_b64 s[14:15], exec
	v_mbcnt_lo_u32_b32 v2, s14, 0
	v_mbcnt_hi_u32_b32 v2, s15, v2
	v_cmp_eq_u32_e32 vcc, 0, v2
	s_and_saveexec_b64 s[16:17], vcc
	s_cbranch_execz .LBB2_128
; %bb.127:
	s_bcnt1_i32_b64 s14, s[14:15]
	v_mov_b32_e32 v2, s14
	s_waitcnt vmcnt(0)
	global_atomic_add_x2 v[0:1], v[2:3], off offset:8
.LBB2_128:
	s_or_b64 exec, exec, s[16:17]
	s_waitcnt vmcnt(0)
	global_load_dwordx2 v[2:3], v[0:1], off offset:16
	s_waitcnt vmcnt(0)
	v_cmp_eq_u64_e32 vcc, 0, v[2:3]
	s_cbranch_vccnz .LBB2_130
; %bb.129:
	global_load_dword v0, v[0:1], off offset:24
	v_mov_b32_e32 v1, 0
	s_waitcnt vmcnt(0)
	v_readfirstlane_b32 s14, v0
	s_and_b32 m0, s14, 0xffffff
	global_store_dwordx2 v[2:3], v[0:1], off
	s_sendmsg sendmsg(MSG_INTERRUPT)
.LBB2_130:
	s_or_b64 exec, exec, s[12:13]
	s_branch .LBB2_134
.LBB2_131:                              ;   in Loop: Header=BB2_134 Depth=1
	s_or_b64 exec, exec, s[12:13]
	v_readfirstlane_b32 s12, v0
	s_cmp_eq_u32 s12, 0
	s_cbranch_scc1 .LBB2_133
; %bb.132:                              ;   in Loop: Header=BB2_134 Depth=1
	s_sleep 1
	s_cbranch_execnz .LBB2_134
	s_branch .LBB2_136
.LBB2_133:
	s_branch .LBB2_136
.LBB2_134:                              ; =>This Inner Loop Header: Depth=1
	v_mov_b32_e32 v0, 1
	s_and_saveexec_b64 s[12:13], s[4:5]
	s_cbranch_execz .LBB2_131
; %bb.135:                              ;   in Loop: Header=BB2_134 Depth=1
	global_load_dword v0, v[8:9], off offset:20 glc
	s_waitcnt vmcnt(0)
	buffer_wbinvl1_vol
	v_and_b32_e32 v0, 1, v0
	s_branch .LBB2_131
.LBB2_136:
	global_load_dwordx2 v[0:1], v[10:11], off
	s_and_saveexec_b64 s[12:13], s[4:5]
	s_cbranch_execz .LBB2_139
; %bb.137:
	v_mov_b32_e32 v8, 0
	global_load_dwordx2 v[2:3], v8, s[10:11] offset:40
	global_load_dwordx2 v[11:12], v8, s[10:11] offset:24 glc
	global_load_dwordx2 v[4:5], v8, s[10:11]
	s_waitcnt vmcnt(2)
	v_readfirstlane_b32 s14, v2
	v_readfirstlane_b32 s15, v3
	s_add_u32 s16, s14, 1
	s_addc_u32 s17, s15, 0
	s_add_u32 s4, s16, s6
	s_addc_u32 s5, s17, s7
	s_cmp_eq_u64 s[4:5], 0
	s_cselect_b32 s5, s17, s5
	s_cselect_b32 s4, s16, s4
	s_and_b64 s[6:7], s[4:5], s[14:15]
	s_mul_i32 s7, s7, 24
	s_mul_hi_u32 s14, s6, 24
	s_mul_i32 s6, s6, 24
	s_add_i32 s7, s14, s7
	v_mov_b32_e32 v2, s7
	s_waitcnt vmcnt(0)
	v_add_co_u32_e32 v6, vcc, s6, v4
	v_addc_co_u32_e32 v7, vcc, v5, v2, vcc
	v_mov_b32_e32 v9, s4
	global_store_dwordx2 v[6:7], v[11:12], off
	v_mov_b32_e32 v10, s5
	s_waitcnt vmcnt(0)
	global_atomic_cmpswap_x2 v[4:5], v8, v[9:12], s[10:11] offset:24 glc
	s_mov_b64 s[6:7], 0
	s_waitcnt vmcnt(0)
	v_cmp_ne_u64_e32 vcc, v[4:5], v[11:12]
	s_and_b64 exec, exec, vcc
	s_cbranch_execz .LBB2_139
.LBB2_138:                              ; =>This Inner Loop Header: Depth=1
	s_sleep 1
	global_store_dwordx2 v[6:7], v[4:5], off
	v_mov_b32_e32 v2, s4
	v_mov_b32_e32 v3, s5
	s_waitcnt vmcnt(0)
	global_atomic_cmpswap_x2 v[2:3], v8, v[2:5], s[10:11] offset:24 glc
	s_waitcnt vmcnt(0)
	v_cmp_eq_u64_e32 vcc, v[2:3], v[4:5]
	v_mov_b32_e32 v5, v3
	s_or_b64 s[6:7], vcc, s[6:7]
	v_mov_b32_e32 v4, v2
	s_andn2_b64 exec, exec, s[6:7]
	s_cbranch_execnz .LBB2_138
.LBB2_139:
	s_or_b64 exec, exec, s[12:13]
.LBB2_140:
	s_getpc_b64 s[6:7]
	s_add_u32 s6, s6, .str.4@rel32@lo+4
	s_addc_u32 s7, s7, .str.4@rel32@hi+12
	s_cmp_lg_u64 s[6:7], 0
	s_cbranch_scc0 .LBB2_225
; %bb.141:
	s_getpc_b64 s[4:5]
	s_add_u32 s4, s4, .str.4@rel32@lo+77
	s_addc_u32 s5, s5, .str.4@rel32@hi+85
	s_sub_i32 s12, s4, s6
	s_ashr_i32 s13, s12, 31
	s_waitcnt vmcnt(0)
	v_and_b32_e32 v29, 2, v0
	v_mov_b32_e32 v26, 0
	v_and_b32_e32 v2, -3, v0
	v_mov_b32_e32 v3, v1
	v_mov_b32_e32 v8, 2
	;; [unrolled: 1-line block ×3, first 2 shown]
	s_branch .LBB2_143
.LBB2_142:                              ;   in Loop: Header=BB2_143 Depth=1
	s_or_b64 exec, exec, s[18:19]
	s_sub_u32 s12, s12, s14
	s_subb_u32 s13, s13, s15
	s_add_u32 s6, s6, s14
	s_addc_u32 s7, s7, s15
	s_cmp_lg_u64 s[12:13], 0
	s_cbranch_scc0 .LBB2_226
.LBB2_143:                              ; =>This Loop Header: Depth=1
                                        ;     Child Loop BB2_146 Depth 2
                                        ;     Child Loop BB2_154 Depth 2
	;; [unrolled: 1-line block ×11, first 2 shown]
	v_cmp_lt_u64_e64 s[4:5], s[12:13], 56
	v_cmp_gt_u64_e64 s[16:17], s[12:13], 7
	s_and_b64 s[4:5], s[4:5], exec
	s_cselect_b32 s15, s13, 0
	s_cselect_b32 s14, s12, 56
	s_add_u32 s4, s6, 8
	s_addc_u32 s5, s7, 0
	s_and_b64 vcc, exec, s[16:17]
	s_cbranch_vccnz .LBB2_147
; %bb.144:                              ;   in Loop: Header=BB2_143 Depth=1
	s_cmp_eq_u64 s[12:13], 0
	s_cbranch_scc1 .LBB2_148
; %bb.145:                              ;   in Loop: Header=BB2_143 Depth=1
	v_mov_b32_e32 v4, 0
	s_lshl_b64 s[4:5], s[14:15], 3
	s_mov_b64 s[16:17], 0
	v_mov_b32_e32 v5, 0
	s_mov_b64 s[18:19], s[6:7]
.LBB2_146:                              ;   Parent Loop BB2_143 Depth=1
                                        ; =>  This Inner Loop Header: Depth=2
	global_load_ubyte v6, v26, s[18:19]
	s_waitcnt vmcnt(0)
	v_and_b32_e32 v25, 0xffff, v6
	v_lshlrev_b64 v[6:7], s16, v[25:26]
	s_add_u32 s16, s16, 8
	s_addc_u32 s17, s17, 0
	s_add_u32 s18, s18, 1
	s_addc_u32 s19, s19, 0
	v_or_b32_e32 v4, v6, v4
	s_cmp_lg_u32 s4, s16
	v_or_b32_e32 v5, v7, v5
	s_cbranch_scc1 .LBB2_146
	s_branch .LBB2_149
.LBB2_147:                              ;   in Loop: Header=BB2_143 Depth=1
	s_mov_b32 s20, 0
	s_branch .LBB2_150
.LBB2_148:                              ;   in Loop: Header=BB2_143 Depth=1
	v_mov_b32_e32 v4, 0
	v_mov_b32_e32 v5, 0
.LBB2_149:                              ;   in Loop: Header=BB2_143 Depth=1
	s_mov_b64 s[4:5], s[6:7]
	s_mov_b32 s20, 0
	s_cbranch_execnz .LBB2_151
.LBB2_150:                              ;   in Loop: Header=BB2_143 Depth=1
	global_load_dwordx2 v[4:5], v26, s[6:7]
	s_add_i32 s20, s14, -8
.LBB2_151:                              ;   in Loop: Header=BB2_143 Depth=1
	s_add_u32 s16, s4, 8
	s_addc_u32 s17, s5, 0
	s_cmp_gt_u32 s20, 7
	s_cbranch_scc1 .LBB2_155
; %bb.152:                              ;   in Loop: Header=BB2_143 Depth=1
	s_cmp_eq_u32 s20, 0
	s_cbranch_scc1 .LBB2_156
; %bb.153:                              ;   in Loop: Header=BB2_143 Depth=1
	v_mov_b32_e32 v10, 0
	s_mov_b64 s[16:17], 0
	v_mov_b32_e32 v11, 0
	s_mov_b64 s[18:19], 0
.LBB2_154:                              ;   Parent Loop BB2_143 Depth=1
                                        ; =>  This Inner Loop Header: Depth=2
	s_add_u32 s22, s4, s18
	s_addc_u32 s23, s5, s19
	global_load_ubyte v6, v26, s[22:23]
	s_add_u32 s18, s18, 1
	s_addc_u32 s19, s19, 0
	s_waitcnt vmcnt(0)
	v_and_b32_e32 v25, 0xffff, v6
	v_lshlrev_b64 v[6:7], s16, v[25:26]
	s_add_u32 s16, s16, 8
	s_addc_u32 s17, s17, 0
	v_or_b32_e32 v10, v6, v10
	s_cmp_lg_u32 s20, s18
	v_or_b32_e32 v11, v7, v11
	s_cbranch_scc1 .LBB2_154
	s_branch .LBB2_157
.LBB2_155:                              ;   in Loop: Header=BB2_143 Depth=1
                                        ; implicit-def: $vgpr10_vgpr11
	s_mov_b32 s21, 0
	s_branch .LBB2_158
.LBB2_156:                              ;   in Loop: Header=BB2_143 Depth=1
	v_mov_b32_e32 v10, 0
	v_mov_b32_e32 v11, 0
.LBB2_157:                              ;   in Loop: Header=BB2_143 Depth=1
	s_mov_b64 s[16:17], s[4:5]
	s_mov_b32 s21, 0
	s_cbranch_execnz .LBB2_159
.LBB2_158:                              ;   in Loop: Header=BB2_143 Depth=1
	global_load_dwordx2 v[10:11], v26, s[4:5]
	s_add_i32 s21, s20, -8
.LBB2_159:                              ;   in Loop: Header=BB2_143 Depth=1
	s_add_u32 s4, s16, 8
	s_addc_u32 s5, s17, 0
	s_cmp_gt_u32 s21, 7
	s_cbranch_scc1 .LBB2_163
; %bb.160:                              ;   in Loop: Header=BB2_143 Depth=1
	s_cmp_eq_u32 s21, 0
	s_cbranch_scc1 .LBB2_164
; %bb.161:                              ;   in Loop: Header=BB2_143 Depth=1
	v_mov_b32_e32 v12, 0
	s_mov_b64 s[4:5], 0
	v_mov_b32_e32 v13, 0
	s_mov_b64 s[18:19], 0
.LBB2_162:                              ;   Parent Loop BB2_143 Depth=1
                                        ; =>  This Inner Loop Header: Depth=2
	s_add_u32 s22, s16, s18
	s_addc_u32 s23, s17, s19
	global_load_ubyte v6, v26, s[22:23]
	s_add_u32 s18, s18, 1
	s_addc_u32 s19, s19, 0
	s_waitcnt vmcnt(0)
	v_and_b32_e32 v25, 0xffff, v6
	v_lshlrev_b64 v[6:7], s4, v[25:26]
	s_add_u32 s4, s4, 8
	s_addc_u32 s5, s5, 0
	v_or_b32_e32 v12, v6, v12
	s_cmp_lg_u32 s21, s18
	v_or_b32_e32 v13, v7, v13
	s_cbranch_scc1 .LBB2_162
	s_branch .LBB2_165
.LBB2_163:                              ;   in Loop: Header=BB2_143 Depth=1
	s_mov_b32 s20, 0
	s_branch .LBB2_166
.LBB2_164:                              ;   in Loop: Header=BB2_143 Depth=1
	v_mov_b32_e32 v12, 0
	v_mov_b32_e32 v13, 0
.LBB2_165:                              ;   in Loop: Header=BB2_143 Depth=1
	s_mov_b64 s[4:5], s[16:17]
	s_mov_b32 s20, 0
	s_cbranch_execnz .LBB2_167
.LBB2_166:                              ;   in Loop: Header=BB2_143 Depth=1
	global_load_dwordx2 v[12:13], v26, s[16:17]
	s_add_i32 s20, s21, -8
.LBB2_167:                              ;   in Loop: Header=BB2_143 Depth=1
	s_add_u32 s16, s4, 8
	s_addc_u32 s17, s5, 0
	s_cmp_gt_u32 s20, 7
	s_cbranch_scc1 .LBB2_171
; %bb.168:                              ;   in Loop: Header=BB2_143 Depth=1
	s_cmp_eq_u32 s20, 0
	s_cbranch_scc1 .LBB2_172
; %bb.169:                              ;   in Loop: Header=BB2_143 Depth=1
	v_mov_b32_e32 v14, 0
	s_mov_b64 s[16:17], 0
	v_mov_b32_e32 v15, 0
	s_mov_b64 s[18:19], 0
.LBB2_170:                              ;   Parent Loop BB2_143 Depth=1
                                        ; =>  This Inner Loop Header: Depth=2
	s_add_u32 s22, s4, s18
	s_addc_u32 s23, s5, s19
	global_load_ubyte v6, v26, s[22:23]
	s_add_u32 s18, s18, 1
	s_addc_u32 s19, s19, 0
	s_waitcnt vmcnt(0)
	v_and_b32_e32 v25, 0xffff, v6
	v_lshlrev_b64 v[6:7], s16, v[25:26]
	s_add_u32 s16, s16, 8
	s_addc_u32 s17, s17, 0
	v_or_b32_e32 v14, v6, v14
	s_cmp_lg_u32 s20, s18
	v_or_b32_e32 v15, v7, v15
	s_cbranch_scc1 .LBB2_170
	s_branch .LBB2_173
.LBB2_171:                              ;   in Loop: Header=BB2_143 Depth=1
                                        ; implicit-def: $vgpr14_vgpr15
	s_mov_b32 s21, 0
	s_branch .LBB2_174
.LBB2_172:                              ;   in Loop: Header=BB2_143 Depth=1
	v_mov_b32_e32 v14, 0
	v_mov_b32_e32 v15, 0
.LBB2_173:                              ;   in Loop: Header=BB2_143 Depth=1
	s_mov_b64 s[16:17], s[4:5]
	s_mov_b32 s21, 0
	s_cbranch_execnz .LBB2_175
.LBB2_174:                              ;   in Loop: Header=BB2_143 Depth=1
	global_load_dwordx2 v[14:15], v26, s[4:5]
	s_add_i32 s21, s20, -8
.LBB2_175:                              ;   in Loop: Header=BB2_143 Depth=1
	s_add_u32 s4, s16, 8
	s_addc_u32 s5, s17, 0
	s_cmp_gt_u32 s21, 7
	s_cbranch_scc1 .LBB2_179
; %bb.176:                              ;   in Loop: Header=BB2_143 Depth=1
	s_cmp_eq_u32 s21, 0
	s_cbranch_scc1 .LBB2_180
; %bb.177:                              ;   in Loop: Header=BB2_143 Depth=1
	v_mov_b32_e32 v16, 0
	s_mov_b64 s[4:5], 0
	v_mov_b32_e32 v17, 0
	s_mov_b64 s[18:19], 0
.LBB2_178:                              ;   Parent Loop BB2_143 Depth=1
                                        ; =>  This Inner Loop Header: Depth=2
	s_add_u32 s22, s16, s18
	s_addc_u32 s23, s17, s19
	global_load_ubyte v6, v26, s[22:23]
	s_add_u32 s18, s18, 1
	s_addc_u32 s19, s19, 0
	s_waitcnt vmcnt(0)
	v_and_b32_e32 v25, 0xffff, v6
	v_lshlrev_b64 v[6:7], s4, v[25:26]
	s_add_u32 s4, s4, 8
	s_addc_u32 s5, s5, 0
	v_or_b32_e32 v16, v6, v16
	s_cmp_lg_u32 s21, s18
	v_or_b32_e32 v17, v7, v17
	s_cbranch_scc1 .LBB2_178
	s_branch .LBB2_181
.LBB2_179:                              ;   in Loop: Header=BB2_143 Depth=1
	s_mov_b32 s20, 0
	s_branch .LBB2_182
.LBB2_180:                              ;   in Loop: Header=BB2_143 Depth=1
	v_mov_b32_e32 v16, 0
	v_mov_b32_e32 v17, 0
.LBB2_181:                              ;   in Loop: Header=BB2_143 Depth=1
	s_mov_b64 s[4:5], s[16:17]
	s_mov_b32 s20, 0
	s_cbranch_execnz .LBB2_183
.LBB2_182:                              ;   in Loop: Header=BB2_143 Depth=1
	global_load_dwordx2 v[16:17], v26, s[16:17]
	s_add_i32 s20, s21, -8
.LBB2_183:                              ;   in Loop: Header=BB2_143 Depth=1
	s_add_u32 s16, s4, 8
	s_addc_u32 s17, s5, 0
	s_cmp_gt_u32 s20, 7
	s_cbranch_scc1 .LBB2_187
; %bb.184:                              ;   in Loop: Header=BB2_143 Depth=1
	s_cmp_eq_u32 s20, 0
	s_cbranch_scc1 .LBB2_188
; %bb.185:                              ;   in Loop: Header=BB2_143 Depth=1
	v_mov_b32_e32 v18, 0
	s_mov_b64 s[16:17], 0
	v_mov_b32_e32 v19, 0
	s_mov_b64 s[18:19], 0
.LBB2_186:                              ;   Parent Loop BB2_143 Depth=1
                                        ; =>  This Inner Loop Header: Depth=2
	s_add_u32 s22, s4, s18
	s_addc_u32 s23, s5, s19
	global_load_ubyte v6, v26, s[22:23]
	s_add_u32 s18, s18, 1
	s_addc_u32 s19, s19, 0
	s_waitcnt vmcnt(0)
	v_and_b32_e32 v25, 0xffff, v6
	v_lshlrev_b64 v[6:7], s16, v[25:26]
	s_add_u32 s16, s16, 8
	s_addc_u32 s17, s17, 0
	v_or_b32_e32 v18, v6, v18
	s_cmp_lg_u32 s20, s18
	v_or_b32_e32 v19, v7, v19
	s_cbranch_scc1 .LBB2_186
	s_branch .LBB2_189
.LBB2_187:                              ;   in Loop: Header=BB2_143 Depth=1
                                        ; implicit-def: $vgpr18_vgpr19
	s_mov_b32 s21, 0
	s_branch .LBB2_190
.LBB2_188:                              ;   in Loop: Header=BB2_143 Depth=1
	v_mov_b32_e32 v18, 0
	v_mov_b32_e32 v19, 0
.LBB2_189:                              ;   in Loop: Header=BB2_143 Depth=1
	s_mov_b64 s[16:17], s[4:5]
	s_mov_b32 s21, 0
	s_cbranch_execnz .LBB2_191
.LBB2_190:                              ;   in Loop: Header=BB2_143 Depth=1
	global_load_dwordx2 v[18:19], v26, s[4:5]
	s_add_i32 s21, s20, -8
.LBB2_191:                              ;   in Loop: Header=BB2_143 Depth=1
	s_cmp_gt_u32 s21, 7
	s_cbranch_scc1 .LBB2_195
; %bb.192:                              ;   in Loop: Header=BB2_143 Depth=1
	s_cmp_eq_u32 s21, 0
	s_cbranch_scc1 .LBB2_196
; %bb.193:                              ;   in Loop: Header=BB2_143 Depth=1
	v_mov_b32_e32 v20, 0
	s_mov_b64 s[4:5], 0
	v_mov_b32_e32 v21, 0
	s_mov_b64 s[18:19], s[16:17]
.LBB2_194:                              ;   Parent Loop BB2_143 Depth=1
                                        ; =>  This Inner Loop Header: Depth=2
	global_load_ubyte v6, v26, s[18:19]
	s_add_i32 s21, s21, -1
	s_waitcnt vmcnt(0)
	v_and_b32_e32 v25, 0xffff, v6
	v_lshlrev_b64 v[6:7], s4, v[25:26]
	s_add_u32 s4, s4, 8
	s_addc_u32 s5, s5, 0
	s_add_u32 s18, s18, 1
	s_addc_u32 s19, s19, 0
	v_or_b32_e32 v20, v6, v20
	s_cmp_lg_u32 s21, 0
	v_or_b32_e32 v21, v7, v21
	s_cbranch_scc1 .LBB2_194
	s_branch .LBB2_197
.LBB2_195:                              ;   in Loop: Header=BB2_143 Depth=1
	s_branch .LBB2_198
.LBB2_196:                              ;   in Loop: Header=BB2_143 Depth=1
	v_mov_b32_e32 v20, 0
	v_mov_b32_e32 v21, 0
.LBB2_197:                              ;   in Loop: Header=BB2_143 Depth=1
	s_cbranch_execnz .LBB2_199
.LBB2_198:                              ;   in Loop: Header=BB2_143 Depth=1
	global_load_dwordx2 v[20:21], v26, s[16:17]
.LBB2_199:                              ;   in Loop: Header=BB2_143 Depth=1
	v_readfirstlane_b32 s4, v32
	v_mov_b32_e32 v6, 0
	v_mov_b32_e32 v7, 0
	v_cmp_eq_u32_e64 s[4:5], s4, v32
	s_and_saveexec_b64 s[16:17], s[4:5]
	s_cbranch_execz .LBB2_205
; %bb.200:                              ;   in Loop: Header=BB2_143 Depth=1
	global_load_dwordx2 v[24:25], v26, s[10:11] offset:24 glc
	s_waitcnt vmcnt(0)
	buffer_wbinvl1_vol
	global_load_dwordx2 v[6:7], v26, s[10:11] offset:40
	global_load_dwordx2 v[22:23], v26, s[10:11]
	s_waitcnt vmcnt(1)
	v_and_b32_e32 v6, v6, v24
	v_and_b32_e32 v7, v7, v25
	v_mul_lo_u32 v7, v7, 24
	v_mul_hi_u32 v27, v6, 24
	v_mul_lo_u32 v6, v6, 24
	v_add_u32_e32 v7, v27, v7
	s_waitcnt vmcnt(0)
	v_add_co_u32_e32 v6, vcc, v22, v6
	v_addc_co_u32_e32 v7, vcc, v23, v7, vcc
	global_load_dwordx2 v[22:23], v[6:7], off glc
	s_waitcnt vmcnt(0)
	global_atomic_cmpswap_x2 v[6:7], v26, v[22:25], s[10:11] offset:24 glc
	s_waitcnt vmcnt(0)
	buffer_wbinvl1_vol
	v_cmp_ne_u64_e32 vcc, v[6:7], v[24:25]
	s_and_saveexec_b64 s[18:19], vcc
	s_cbranch_execz .LBB2_204
; %bb.201:                              ;   in Loop: Header=BB2_143 Depth=1
	s_mov_b64 s[20:21], 0
.LBB2_202:                              ;   Parent Loop BB2_143 Depth=1
                                        ; =>  This Inner Loop Header: Depth=2
	s_sleep 1
	global_load_dwordx2 v[22:23], v26, s[10:11] offset:40
	global_load_dwordx2 v[27:28], v26, s[10:11]
	v_mov_b32_e32 v25, v7
	v_mov_b32_e32 v24, v6
	s_waitcnt vmcnt(1)
	v_and_b32_e32 v6, v22, v24
	s_waitcnt vmcnt(0)
	v_mad_u64_u32 v[6:7], s[22:23], v6, 24, v[27:28]
	v_and_b32_e32 v22, v23, v25
	v_mad_u64_u32 v[22:23], s[22:23], v22, 24, v[7:8]
	v_mov_b32_e32 v7, v22
	global_load_dwordx2 v[22:23], v[6:7], off glc
	s_waitcnt vmcnt(0)
	global_atomic_cmpswap_x2 v[6:7], v26, v[22:25], s[10:11] offset:24 glc
	s_waitcnt vmcnt(0)
	buffer_wbinvl1_vol
	v_cmp_eq_u64_e32 vcc, v[6:7], v[24:25]
	s_or_b64 s[20:21], vcc, s[20:21]
	s_andn2_b64 exec, exec, s[20:21]
	s_cbranch_execnz .LBB2_202
; %bb.203:                              ;   in Loop: Header=BB2_143 Depth=1
	s_or_b64 exec, exec, s[20:21]
.LBB2_204:                              ;   in Loop: Header=BB2_143 Depth=1
	s_or_b64 exec, exec, s[18:19]
.LBB2_205:                              ;   in Loop: Header=BB2_143 Depth=1
	s_or_b64 exec, exec, s[16:17]
	global_load_dwordx2 v[27:28], v26, s[10:11] offset:40
	global_load_dwordx4 v[22:25], v26, s[10:11]
	v_readfirstlane_b32 s17, v7
	v_readfirstlane_b32 s16, v6
	s_mov_b64 s[18:19], exec
	s_waitcnt vmcnt(1)
	v_readfirstlane_b32 s20, v27
	v_readfirstlane_b32 s21, v28
	s_and_b64 s[20:21], s[20:21], s[16:17]
	s_mul_i32 s22, s21, 24
	s_mul_hi_u32 s23, s20, 24
	s_mul_i32 s24, s20, 24
	s_add_i32 s22, s23, s22
	v_mov_b32_e32 v6, s22
	s_waitcnt vmcnt(0)
	v_add_co_u32_e32 v27, vcc, s24, v22
	v_addc_co_u32_e32 v28, vcc, v23, v6, vcc
	s_and_saveexec_b64 s[22:23], s[4:5]
	s_cbranch_execz .LBB2_207
; %bb.206:                              ;   in Loop: Header=BB2_143 Depth=1
	v_mov_b32_e32 v6, s18
	v_mov_b32_e32 v7, s19
	global_store_dwordx4 v[27:28], v[6:9], off offset:8
.LBB2_207:                              ;   in Loop: Header=BB2_143 Depth=1
	s_or_b64 exec, exec, s[22:23]
	s_lshl_b64 s[18:19], s[20:21], 12
	v_mov_b32_e32 v6, s19
	v_add_co_u32_e32 v24, vcc, s18, v24
	v_addc_co_u32_e32 v30, vcc, v25, v6, vcc
	v_cmp_lt_u64_e64 vcc, s[12:13], 57
	s_lshl_b32 s18, s14, 2
	v_cndmask_b32_e32 v6, 0, v29, vcc
	s_add_i32 s18, s18, 28
	v_and_b32_e32 v2, 0xffffff1f, v2
	s_and_b32 s18, s18, 0x1e0
	v_or_b32_e32 v2, v2, v6
	v_or_b32_e32 v2, s18, v2
	v_readfirstlane_b32 s18, v24
	v_readfirstlane_b32 s19, v30
	s_nop 4
	global_store_dwordx4 v33, v[2:5], s[18:19]
	global_store_dwordx4 v33, v[10:13], s[18:19] offset:16
	global_store_dwordx4 v33, v[14:17], s[18:19] offset:32
	;; [unrolled: 1-line block ×3, first 2 shown]
	s_and_saveexec_b64 s[18:19], s[4:5]
	s_cbranch_execz .LBB2_215
; %bb.208:                              ;   in Loop: Header=BB2_143 Depth=1
	global_load_dwordx2 v[12:13], v26, s[10:11] offset:32 glc
	global_load_dwordx2 v[2:3], v26, s[10:11] offset:40
	v_mov_b32_e32 v10, s16
	v_mov_b32_e32 v11, s17
	s_waitcnt vmcnt(0)
	v_readfirstlane_b32 s20, v2
	v_readfirstlane_b32 s21, v3
	s_and_b64 s[20:21], s[20:21], s[16:17]
	s_mul_i32 s21, s21, 24
	s_mul_hi_u32 s22, s20, 24
	s_mul_i32 s20, s20, 24
	s_add_i32 s21, s22, s21
	v_mov_b32_e32 v2, s21
	v_add_co_u32_e32 v6, vcc, s20, v22
	v_addc_co_u32_e32 v7, vcc, v23, v2, vcc
	global_store_dwordx2 v[6:7], v[12:13], off
	s_waitcnt vmcnt(0)
	global_atomic_cmpswap_x2 v[4:5], v26, v[10:13], s[10:11] offset:32 glc
	s_waitcnt vmcnt(0)
	v_cmp_ne_u64_e32 vcc, v[4:5], v[12:13]
	s_and_saveexec_b64 s[20:21], vcc
	s_cbranch_execz .LBB2_211
; %bb.209:                              ;   in Loop: Header=BB2_143 Depth=1
	s_mov_b64 s[22:23], 0
.LBB2_210:                              ;   Parent Loop BB2_143 Depth=1
                                        ; =>  This Inner Loop Header: Depth=2
	s_sleep 1
	global_store_dwordx2 v[6:7], v[4:5], off
	v_mov_b32_e32 v2, s16
	v_mov_b32_e32 v3, s17
	s_waitcnt vmcnt(0)
	global_atomic_cmpswap_x2 v[2:3], v26, v[2:5], s[10:11] offset:32 glc
	s_waitcnt vmcnt(0)
	v_cmp_eq_u64_e32 vcc, v[2:3], v[4:5]
	v_mov_b32_e32 v5, v3
	s_or_b64 s[22:23], vcc, s[22:23]
	v_mov_b32_e32 v4, v2
	s_andn2_b64 exec, exec, s[22:23]
	s_cbranch_execnz .LBB2_210
.LBB2_211:                              ;   in Loop: Header=BB2_143 Depth=1
	s_or_b64 exec, exec, s[20:21]
	global_load_dwordx2 v[2:3], v26, s[10:11] offset:16
	s_mov_b64 s[22:23], exec
	v_mbcnt_lo_u32_b32 v4, s22, 0
	v_mbcnt_hi_u32_b32 v4, s23, v4
	v_cmp_eq_u32_e32 vcc, 0, v4
	s_and_saveexec_b64 s[20:21], vcc
	s_cbranch_execz .LBB2_213
; %bb.212:                              ;   in Loop: Header=BB2_143 Depth=1
	s_bcnt1_i32_b64 s22, s[22:23]
	v_mov_b32_e32 v25, s22
	s_waitcnt vmcnt(0)
	global_atomic_add_x2 v[2:3], v[25:26], off offset:8
.LBB2_213:                              ;   in Loop: Header=BB2_143 Depth=1
	s_or_b64 exec, exec, s[20:21]
	s_waitcnt vmcnt(0)
	global_load_dwordx2 v[4:5], v[2:3], off offset:16
	s_waitcnt vmcnt(0)
	v_cmp_eq_u64_e32 vcc, 0, v[4:5]
	s_cbranch_vccnz .LBB2_215
; %bb.214:                              ;   in Loop: Header=BB2_143 Depth=1
	global_load_dword v25, v[2:3], off offset:24
	s_waitcnt vmcnt(0)
	v_readfirstlane_b32 s20, v25
	s_and_b32 m0, s20, 0xffffff
	global_store_dwordx2 v[4:5], v[25:26], off
	s_sendmsg sendmsg(MSG_INTERRUPT)
.LBB2_215:                              ;   in Loop: Header=BB2_143 Depth=1
	s_or_b64 exec, exec, s[18:19]
	v_add_co_u32_e32 v2, vcc, v24, v33
	v_addc_co_u32_e32 v3, vcc, 0, v30, vcc
	s_branch .LBB2_219
.LBB2_216:                              ;   in Loop: Header=BB2_219 Depth=2
	s_or_b64 exec, exec, s[18:19]
	v_readfirstlane_b32 s18, v4
	s_cmp_eq_u32 s18, 0
	s_cbranch_scc1 .LBB2_218
; %bb.217:                              ;   in Loop: Header=BB2_219 Depth=2
	s_sleep 1
	s_cbranch_execnz .LBB2_219
	s_branch .LBB2_221
.LBB2_218:                              ;   in Loop: Header=BB2_143 Depth=1
	s_branch .LBB2_221
.LBB2_219:                              ;   Parent Loop BB2_143 Depth=1
                                        ; =>  This Inner Loop Header: Depth=2
	v_mov_b32_e32 v4, 1
	s_and_saveexec_b64 s[18:19], s[4:5]
	s_cbranch_execz .LBB2_216
; %bb.220:                              ;   in Loop: Header=BB2_219 Depth=2
	global_load_dword v4, v[27:28], off offset:20 glc
	s_waitcnt vmcnt(0)
	buffer_wbinvl1_vol
	v_and_b32_e32 v4, 1, v4
	s_branch .LBB2_216
.LBB2_221:                              ;   in Loop: Header=BB2_143 Depth=1
	global_load_dwordx2 v[2:3], v[2:3], off
	s_and_saveexec_b64 s[18:19], s[4:5]
	s_cbranch_execz .LBB2_142
; %bb.222:                              ;   in Loop: Header=BB2_143 Depth=1
	global_load_dwordx2 v[4:5], v26, s[10:11] offset:40
	global_load_dwordx2 v[14:15], v26, s[10:11] offset:24 glc
	global_load_dwordx2 v[6:7], v26, s[10:11]
	s_waitcnt vmcnt(2)
	v_readfirstlane_b32 s20, v4
	v_readfirstlane_b32 s21, v5
	s_add_u32 s22, s20, 1
	s_addc_u32 s23, s21, 0
	s_add_u32 s4, s22, s16
	s_addc_u32 s5, s23, s17
	s_cmp_eq_u64 s[4:5], 0
	s_cselect_b32 s5, s23, s5
	s_cselect_b32 s4, s22, s4
	s_and_b64 s[16:17], s[4:5], s[20:21]
	s_mul_i32 s17, s17, 24
	s_mul_hi_u32 s20, s16, 24
	s_mul_i32 s16, s16, 24
	s_add_i32 s17, s20, s17
	v_mov_b32_e32 v4, s17
	s_waitcnt vmcnt(0)
	v_add_co_u32_e32 v10, vcc, s16, v6
	v_addc_co_u32_e32 v11, vcc, v7, v4, vcc
	v_mov_b32_e32 v12, s4
	global_store_dwordx2 v[10:11], v[14:15], off
	v_mov_b32_e32 v13, s5
	s_waitcnt vmcnt(0)
	global_atomic_cmpswap_x2 v[6:7], v26, v[12:15], s[10:11] offset:24 glc
	s_waitcnt vmcnt(0)
	v_cmp_ne_u64_e32 vcc, v[6:7], v[14:15]
	s_and_b64 exec, exec, vcc
	s_cbranch_execz .LBB2_142
; %bb.223:                              ;   in Loop: Header=BB2_143 Depth=1
	s_mov_b64 s[16:17], 0
.LBB2_224:                              ;   Parent Loop BB2_143 Depth=1
                                        ; =>  This Inner Loop Header: Depth=2
	s_sleep 1
	global_store_dwordx2 v[10:11], v[6:7], off
	v_mov_b32_e32 v4, s4
	v_mov_b32_e32 v5, s5
	s_waitcnt vmcnt(0)
	global_atomic_cmpswap_x2 v[4:5], v26, v[4:7], s[10:11] offset:24 glc
	s_waitcnt vmcnt(0)
	v_cmp_eq_u64_e32 vcc, v[4:5], v[6:7]
	v_mov_b32_e32 v7, v5
	s_or_b64 s[16:17], vcc, s[16:17]
	v_mov_b32_e32 v6, v4
	s_andn2_b64 exec, exec, s[16:17]
	s_cbranch_execnz .LBB2_224
	s_branch .LBB2_142
.LBB2_225:
                                        ; implicit-def: $vgpr2_vgpr3
	s_cbranch_execnz .LBB2_227
	s_branch .LBB2_253
.LBB2_226:
	s_branch .LBB2_253
.LBB2_227:
	v_readfirstlane_b32 s4, v32
	v_mov_b32_e32 v8, 0
	v_mov_b32_e32 v9, 0
	v_cmp_eq_u32_e64 s[4:5], s4, v32
	s_and_saveexec_b64 s[6:7], s[4:5]
	s_cbranch_execz .LBB2_233
; %bb.228:
	s_waitcnt vmcnt(0)
	v_mov_b32_e32 v2, 0
	global_load_dwordx2 v[5:6], v2, s[10:11] offset:24 glc
	s_waitcnt vmcnt(0)
	buffer_wbinvl1_vol
	global_load_dwordx2 v[3:4], v2, s[10:11] offset:40
	global_load_dwordx2 v[7:8], v2, s[10:11]
	s_waitcnt vmcnt(1)
	v_and_b32_e32 v3, v3, v5
	v_and_b32_e32 v4, v4, v6
	v_mul_lo_u32 v4, v4, 24
	v_mul_hi_u32 v9, v3, 24
	v_mul_lo_u32 v3, v3, 24
	v_add_u32_e32 v4, v9, v4
	s_waitcnt vmcnt(0)
	v_add_co_u32_e32 v3, vcc, v7, v3
	v_addc_co_u32_e32 v4, vcc, v8, v4, vcc
	global_load_dwordx2 v[3:4], v[3:4], off glc
	s_waitcnt vmcnt(0)
	global_atomic_cmpswap_x2 v[8:9], v2, v[3:6], s[10:11] offset:24 glc
	s_waitcnt vmcnt(0)
	buffer_wbinvl1_vol
	v_cmp_ne_u64_e32 vcc, v[8:9], v[5:6]
	s_and_saveexec_b64 s[12:13], vcc
	s_cbranch_execz .LBB2_232
; %bb.229:
	s_mov_b64 s[14:15], 0
.LBB2_230:                              ; =>This Inner Loop Header: Depth=1
	s_sleep 1
	global_load_dwordx2 v[3:4], v2, s[10:11] offset:40
	global_load_dwordx2 v[10:11], v2, s[10:11]
	v_mov_b32_e32 v5, v8
	v_mov_b32_e32 v6, v9
	s_waitcnt vmcnt(1)
	v_and_b32_e32 v3, v3, v5
	s_waitcnt vmcnt(0)
	v_mad_u64_u32 v[7:8], s[16:17], v3, 24, v[10:11]
	v_and_b32_e32 v4, v4, v6
	v_mov_b32_e32 v3, v8
	v_mad_u64_u32 v[3:4], s[16:17], v4, 24, v[3:4]
	v_mov_b32_e32 v8, v3
	global_load_dwordx2 v[3:4], v[7:8], off glc
	s_waitcnt vmcnt(0)
	global_atomic_cmpswap_x2 v[8:9], v2, v[3:6], s[10:11] offset:24 glc
	s_waitcnt vmcnt(0)
	buffer_wbinvl1_vol
	v_cmp_eq_u64_e32 vcc, v[8:9], v[5:6]
	s_or_b64 s[14:15], vcc, s[14:15]
	s_andn2_b64 exec, exec, s[14:15]
	s_cbranch_execnz .LBB2_230
; %bb.231:
	s_or_b64 exec, exec, s[14:15]
.LBB2_232:
	s_or_b64 exec, exec, s[12:13]
.LBB2_233:
	s_or_b64 exec, exec, s[6:7]
	s_waitcnt vmcnt(0)
	v_mov_b32_e32 v2, 0
	global_load_dwordx2 v[10:11], v2, s[10:11] offset:40
	global_load_dwordx4 v[4:7], v2, s[10:11]
	v_readfirstlane_b32 s7, v9
	v_readfirstlane_b32 s6, v8
	s_mov_b64 s[12:13], exec
	s_waitcnt vmcnt(1)
	v_readfirstlane_b32 s14, v10
	v_readfirstlane_b32 s15, v11
	s_and_b64 s[14:15], s[14:15], s[6:7]
	s_mul_i32 s16, s15, 24
	s_mul_hi_u32 s17, s14, 24
	s_mul_i32 s18, s14, 24
	s_add_i32 s16, s17, s16
	v_mov_b32_e32 v3, s16
	s_waitcnt vmcnt(0)
	v_add_co_u32_e32 v8, vcc, s18, v4
	v_addc_co_u32_e32 v9, vcc, v5, v3, vcc
	s_and_saveexec_b64 s[16:17], s[4:5]
	s_cbranch_execz .LBB2_235
; %bb.234:
	v_mov_b32_e32 v10, s12
	v_mov_b32_e32 v11, s13
	;; [unrolled: 1-line block ×4, first 2 shown]
	global_store_dwordx4 v[8:9], v[10:13], off offset:8
.LBB2_235:
	s_or_b64 exec, exec, s[16:17]
	s_lshl_b64 s[12:13], s[14:15], 12
	v_mov_b32_e32 v3, s13
	v_add_co_u32_e32 v10, vcc, s12, v6
	v_addc_co_u32_e32 v11, vcc, v7, v3, vcc
	s_movk_i32 s12, 0xff1f
	v_and_or_b32 v0, v0, s12, 32
	s_mov_b32 s12, 0
	v_mov_b32_e32 v3, v2
	v_readfirstlane_b32 s16, v10
	v_readfirstlane_b32 s17, v11
	v_add_co_u32_e32 v6, vcc, v10, v33
	s_mov_b32 s13, s12
	s_mov_b32 s14, s12
	;; [unrolled: 1-line block ×3, first 2 shown]
	s_nop 0
	global_store_dwordx4 v33, v[0:3], s[16:17]
	v_addc_co_u32_e32 v7, vcc, 0, v11, vcc
	v_mov_b32_e32 v0, s12
	v_mov_b32_e32 v1, s13
	;; [unrolled: 1-line block ×4, first 2 shown]
	global_store_dwordx4 v33, v[0:3], s[16:17] offset:16
	global_store_dwordx4 v33, v[0:3], s[16:17] offset:32
	;; [unrolled: 1-line block ×3, first 2 shown]
	s_and_saveexec_b64 s[12:13], s[4:5]
	s_cbranch_execz .LBB2_243
; %bb.236:
	v_mov_b32_e32 v10, 0
	global_load_dwordx2 v[13:14], v10, s[10:11] offset:32 glc
	global_load_dwordx2 v[0:1], v10, s[10:11] offset:40
	v_mov_b32_e32 v11, s6
	v_mov_b32_e32 v12, s7
	s_waitcnt vmcnt(0)
	v_readfirstlane_b32 s14, v0
	v_readfirstlane_b32 s15, v1
	s_and_b64 s[14:15], s[14:15], s[6:7]
	s_mul_i32 s15, s15, 24
	s_mul_hi_u32 s16, s14, 24
	s_mul_i32 s14, s14, 24
	s_add_i32 s15, s16, s15
	v_mov_b32_e32 v0, s15
	v_add_co_u32_e32 v4, vcc, s14, v4
	v_addc_co_u32_e32 v5, vcc, v5, v0, vcc
	global_store_dwordx2 v[4:5], v[13:14], off
	s_waitcnt vmcnt(0)
	global_atomic_cmpswap_x2 v[2:3], v10, v[11:14], s[10:11] offset:32 glc
	s_waitcnt vmcnt(0)
	v_cmp_ne_u64_e32 vcc, v[2:3], v[13:14]
	s_and_saveexec_b64 s[14:15], vcc
	s_cbranch_execz .LBB2_239
; %bb.237:
	s_mov_b64 s[16:17], 0
.LBB2_238:                              ; =>This Inner Loop Header: Depth=1
	s_sleep 1
	global_store_dwordx2 v[4:5], v[2:3], off
	v_mov_b32_e32 v0, s6
	v_mov_b32_e32 v1, s7
	s_waitcnt vmcnt(0)
	global_atomic_cmpswap_x2 v[0:1], v10, v[0:3], s[10:11] offset:32 glc
	s_waitcnt vmcnt(0)
	v_cmp_eq_u64_e32 vcc, v[0:1], v[2:3]
	v_mov_b32_e32 v3, v1
	s_or_b64 s[16:17], vcc, s[16:17]
	v_mov_b32_e32 v2, v0
	s_andn2_b64 exec, exec, s[16:17]
	s_cbranch_execnz .LBB2_238
.LBB2_239:
	s_or_b64 exec, exec, s[14:15]
	v_mov_b32_e32 v3, 0
	global_load_dwordx2 v[0:1], v3, s[10:11] offset:16
	s_mov_b64 s[14:15], exec
	v_mbcnt_lo_u32_b32 v2, s14, 0
	v_mbcnt_hi_u32_b32 v2, s15, v2
	v_cmp_eq_u32_e32 vcc, 0, v2
	s_and_saveexec_b64 s[16:17], vcc
	s_cbranch_execz .LBB2_241
; %bb.240:
	s_bcnt1_i32_b64 s14, s[14:15]
	v_mov_b32_e32 v2, s14
	s_waitcnt vmcnt(0)
	global_atomic_add_x2 v[0:1], v[2:3], off offset:8
.LBB2_241:
	s_or_b64 exec, exec, s[16:17]
	s_waitcnt vmcnt(0)
	global_load_dwordx2 v[2:3], v[0:1], off offset:16
	s_waitcnt vmcnt(0)
	v_cmp_eq_u64_e32 vcc, 0, v[2:3]
	s_cbranch_vccnz .LBB2_243
; %bb.242:
	global_load_dword v0, v[0:1], off offset:24
	v_mov_b32_e32 v1, 0
	s_waitcnt vmcnt(0)
	v_readfirstlane_b32 s14, v0
	s_and_b32 m0, s14, 0xffffff
	global_store_dwordx2 v[2:3], v[0:1], off
	s_sendmsg sendmsg(MSG_INTERRUPT)
.LBB2_243:
	s_or_b64 exec, exec, s[12:13]
	s_branch .LBB2_247
.LBB2_244:                              ;   in Loop: Header=BB2_247 Depth=1
	s_or_b64 exec, exec, s[12:13]
	v_readfirstlane_b32 s12, v0
	s_cmp_eq_u32 s12, 0
	s_cbranch_scc1 .LBB2_246
; %bb.245:                              ;   in Loop: Header=BB2_247 Depth=1
	s_sleep 1
	s_cbranch_execnz .LBB2_247
	s_branch .LBB2_249
.LBB2_246:
	s_branch .LBB2_249
.LBB2_247:                              ; =>This Inner Loop Header: Depth=1
	v_mov_b32_e32 v0, 1
	s_and_saveexec_b64 s[12:13], s[4:5]
	s_cbranch_execz .LBB2_244
; %bb.248:                              ;   in Loop: Header=BB2_247 Depth=1
	global_load_dword v0, v[8:9], off offset:20 glc
	s_waitcnt vmcnt(0)
	buffer_wbinvl1_vol
	v_and_b32_e32 v0, 1, v0
	s_branch .LBB2_244
.LBB2_249:
	global_load_dwordx2 v[2:3], v[6:7], off
	s_and_saveexec_b64 s[12:13], s[4:5]
	s_cbranch_execz .LBB2_252
; %bb.250:
	v_mov_b32_e32 v8, 0
	global_load_dwordx2 v[0:1], v8, s[10:11] offset:40
	global_load_dwordx2 v[11:12], v8, s[10:11] offset:24 glc
	global_load_dwordx2 v[4:5], v8, s[10:11]
	s_waitcnt vmcnt(2)
	v_readfirstlane_b32 s14, v0
	v_readfirstlane_b32 s15, v1
	s_add_u32 s16, s14, 1
	s_addc_u32 s17, s15, 0
	s_add_u32 s4, s16, s6
	s_addc_u32 s5, s17, s7
	s_cmp_eq_u64 s[4:5], 0
	s_cselect_b32 s5, s17, s5
	s_cselect_b32 s4, s16, s4
	s_and_b64 s[6:7], s[4:5], s[14:15]
	s_mul_i32 s7, s7, 24
	s_mul_hi_u32 s14, s6, 24
	s_mul_i32 s6, s6, 24
	s_add_i32 s7, s14, s7
	v_mov_b32_e32 v1, s7
	s_waitcnt vmcnt(0)
	v_add_co_u32_e32 v0, vcc, s6, v4
	v_addc_co_u32_e32 v1, vcc, v5, v1, vcc
	v_mov_b32_e32 v9, s4
	global_store_dwordx2 v[0:1], v[11:12], off
	v_mov_b32_e32 v10, s5
	s_waitcnt vmcnt(0)
	global_atomic_cmpswap_x2 v[6:7], v8, v[9:12], s[10:11] offset:24 glc
	s_mov_b64 s[6:7], 0
	s_waitcnt vmcnt(0)
	v_cmp_ne_u64_e32 vcc, v[6:7], v[11:12]
	s_and_b64 exec, exec, vcc
	s_cbranch_execz .LBB2_252
.LBB2_251:                              ; =>This Inner Loop Header: Depth=1
	s_sleep 1
	global_store_dwordx2 v[0:1], v[6:7], off
	v_mov_b32_e32 v4, s4
	v_mov_b32_e32 v5, s5
	s_waitcnt vmcnt(0)
	global_atomic_cmpswap_x2 v[4:5], v8, v[4:7], s[10:11] offset:24 glc
	s_waitcnt vmcnt(0)
	v_cmp_eq_u64_e32 vcc, v[4:5], v[6:7]
	v_mov_b32_e32 v7, v5
	s_or_b64 s[6:7], vcc, s[6:7]
	v_mov_b32_e32 v6, v4
	s_andn2_b64 exec, exec, s[6:7]
	s_cbranch_execnz .LBB2_251
.LBB2_252:
	s_or_b64 exec, exec, s[12:13]
.LBB2_253:
	v_readfirstlane_b32 s4, v32
	s_waitcnt vmcnt(0)
	v_mov_b32_e32 v0, 0
	v_mov_b32_e32 v1, 0
	v_cmp_eq_u32_e64 s[4:5], s4, v32
	s_and_saveexec_b64 s[6:7], s[4:5]
	s_cbranch_execz .LBB2_259
; %bb.254:
	v_mov_b32_e32 v4, 0
	global_load_dwordx2 v[7:8], v4, s[10:11] offset:24 glc
	s_waitcnt vmcnt(0)
	buffer_wbinvl1_vol
	global_load_dwordx2 v[0:1], v4, s[10:11] offset:40
	global_load_dwordx2 v[5:6], v4, s[10:11]
	s_waitcnt vmcnt(1)
	v_and_b32_e32 v0, v0, v7
	v_and_b32_e32 v1, v1, v8
	v_mul_lo_u32 v1, v1, 24
	v_mul_hi_u32 v9, v0, 24
	v_mul_lo_u32 v0, v0, 24
	v_add_u32_e32 v1, v9, v1
	s_waitcnt vmcnt(0)
	v_add_co_u32_e32 v0, vcc, v5, v0
	v_addc_co_u32_e32 v1, vcc, v6, v1, vcc
	global_load_dwordx2 v[5:6], v[0:1], off glc
	s_waitcnt vmcnt(0)
	global_atomic_cmpswap_x2 v[0:1], v4, v[5:8], s[10:11] offset:24 glc
	s_waitcnt vmcnt(0)
	buffer_wbinvl1_vol
	v_cmp_ne_u64_e32 vcc, v[0:1], v[7:8]
	s_and_saveexec_b64 s[12:13], vcc
	s_cbranch_execz .LBB2_258
; %bb.255:
	s_mov_b64 s[14:15], 0
.LBB2_256:                              ; =>This Inner Loop Header: Depth=1
	s_sleep 1
	global_load_dwordx2 v[5:6], v4, s[10:11] offset:40
	global_load_dwordx2 v[9:10], v4, s[10:11]
	v_mov_b32_e32 v8, v1
	v_mov_b32_e32 v7, v0
	s_waitcnt vmcnt(1)
	v_and_b32_e32 v0, v5, v7
	s_waitcnt vmcnt(0)
	v_mad_u64_u32 v[0:1], s[16:17], v0, 24, v[9:10]
	v_and_b32_e32 v5, v6, v8
	v_mad_u64_u32 v[5:6], s[16:17], v5, 24, v[1:2]
	v_mov_b32_e32 v1, v5
	global_load_dwordx2 v[5:6], v[0:1], off glc
	s_waitcnt vmcnt(0)
	global_atomic_cmpswap_x2 v[0:1], v4, v[5:8], s[10:11] offset:24 glc
	s_waitcnt vmcnt(0)
	buffer_wbinvl1_vol
	v_cmp_eq_u64_e32 vcc, v[0:1], v[7:8]
	s_or_b64 s[14:15], vcc, s[14:15]
	s_andn2_b64 exec, exec, s[14:15]
	s_cbranch_execnz .LBB2_256
; %bb.257:
	s_or_b64 exec, exec, s[14:15]
.LBB2_258:
	s_or_b64 exec, exec, s[12:13]
.LBB2_259:
	s_or_b64 exec, exec, s[6:7]
	v_mov_b32_e32 v5, 0
	global_load_dwordx2 v[10:11], v5, s[10:11] offset:40
	global_load_dwordx4 v[6:9], v5, s[10:11]
	v_readfirstlane_b32 s7, v1
	v_readfirstlane_b32 s6, v0
	s_mov_b64 s[12:13], exec
	s_waitcnt vmcnt(1)
	v_readfirstlane_b32 s14, v10
	v_readfirstlane_b32 s15, v11
	s_and_b64 s[14:15], s[14:15], s[6:7]
	s_mul_i32 s16, s15, 24
	s_mul_hi_u32 s17, s14, 24
	s_mul_i32 s18, s14, 24
	s_add_i32 s16, s17, s16
	v_mov_b32_e32 v0, s16
	s_waitcnt vmcnt(0)
	v_add_co_u32_e32 v10, vcc, s18, v6
	v_addc_co_u32_e32 v11, vcc, v7, v0, vcc
	s_and_saveexec_b64 s[16:17], s[4:5]
	s_cbranch_execz .LBB2_261
; %bb.260:
	v_mov_b32_e32 v12, s12
	v_mov_b32_e32 v13, s13
	;; [unrolled: 1-line block ×4, first 2 shown]
	global_store_dwordx4 v[10:11], v[12:15], off offset:8
.LBB2_261:
	s_or_b64 exec, exec, s[16:17]
	s_lshl_b64 s[12:13], s[14:15], 12
	v_mov_b32_e32 v0, s13
	v_add_co_u32_e32 v1, vcc, s12, v8
	v_addc_co_u32_e32 v0, vcc, v9, v0, vcc
	s_movk_i32 s12, 0xff1f
	v_and_or_b32 v2, v2, s12, 32
	v_add_co_u32_e32 v8, vcc, v1, v33
	s_mov_b32 s12, 0
	v_mov_b32_e32 v4, 0x76
	v_readfirstlane_b32 s16, v1
	v_readfirstlane_b32 s17, v0
	v_addc_co_u32_e32 v9, vcc, 0, v0, vcc
	s_mov_b32 s13, s12
	s_mov_b32 s14, s12
	;; [unrolled: 1-line block ×3, first 2 shown]
	s_nop 0
	global_store_dwordx4 v33, v[2:5], s[16:17]
	v_mov_b32_e32 v0, s12
	v_mov_b32_e32 v1, s13
	;; [unrolled: 1-line block ×4, first 2 shown]
	global_store_dwordx4 v33, v[0:3], s[16:17] offset:16
	global_store_dwordx4 v33, v[0:3], s[16:17] offset:32
	;; [unrolled: 1-line block ×3, first 2 shown]
	s_and_saveexec_b64 s[12:13], s[4:5]
	s_cbranch_execz .LBB2_269
; %bb.262:
	v_mov_b32_e32 v12, 0
	global_load_dwordx2 v[15:16], v12, s[10:11] offset:32 glc
	global_load_dwordx2 v[0:1], v12, s[10:11] offset:40
	v_mov_b32_e32 v13, s6
	v_mov_b32_e32 v14, s7
	s_waitcnt vmcnt(0)
	v_readfirstlane_b32 s14, v0
	v_readfirstlane_b32 s15, v1
	s_and_b64 s[14:15], s[14:15], s[6:7]
	s_mul_i32 s15, s15, 24
	s_mul_hi_u32 s16, s14, 24
	s_mul_i32 s14, s14, 24
	s_add_i32 s15, s16, s15
	v_mov_b32_e32 v0, s15
	v_add_co_u32_e32 v4, vcc, s14, v6
	v_addc_co_u32_e32 v5, vcc, v7, v0, vcc
	global_store_dwordx2 v[4:5], v[15:16], off
	s_waitcnt vmcnt(0)
	global_atomic_cmpswap_x2 v[2:3], v12, v[13:16], s[10:11] offset:32 glc
	s_waitcnt vmcnt(0)
	v_cmp_ne_u64_e32 vcc, v[2:3], v[15:16]
	s_and_saveexec_b64 s[14:15], vcc
	s_cbranch_execz .LBB2_265
; %bb.263:
	s_mov_b64 s[16:17], 0
.LBB2_264:                              ; =>This Inner Loop Header: Depth=1
	s_sleep 1
	global_store_dwordx2 v[4:5], v[2:3], off
	v_mov_b32_e32 v0, s6
	v_mov_b32_e32 v1, s7
	s_waitcnt vmcnt(0)
	global_atomic_cmpswap_x2 v[0:1], v12, v[0:3], s[10:11] offset:32 glc
	s_waitcnt vmcnt(0)
	v_cmp_eq_u64_e32 vcc, v[0:1], v[2:3]
	v_mov_b32_e32 v3, v1
	s_or_b64 s[16:17], vcc, s[16:17]
	v_mov_b32_e32 v2, v0
	s_andn2_b64 exec, exec, s[16:17]
	s_cbranch_execnz .LBB2_264
.LBB2_265:
	s_or_b64 exec, exec, s[14:15]
	v_mov_b32_e32 v3, 0
	global_load_dwordx2 v[0:1], v3, s[10:11] offset:16
	s_mov_b64 s[14:15], exec
	v_mbcnt_lo_u32_b32 v2, s14, 0
	v_mbcnt_hi_u32_b32 v2, s15, v2
	v_cmp_eq_u32_e32 vcc, 0, v2
	s_and_saveexec_b64 s[16:17], vcc
	s_cbranch_execz .LBB2_267
; %bb.266:
	s_bcnt1_i32_b64 s14, s[14:15]
	v_mov_b32_e32 v2, s14
	s_waitcnt vmcnt(0)
	global_atomic_add_x2 v[0:1], v[2:3], off offset:8
.LBB2_267:
	s_or_b64 exec, exec, s[16:17]
	s_waitcnt vmcnt(0)
	global_load_dwordx2 v[2:3], v[0:1], off offset:16
	s_waitcnt vmcnt(0)
	v_cmp_eq_u64_e32 vcc, 0, v[2:3]
	s_cbranch_vccnz .LBB2_269
; %bb.268:
	global_load_dword v0, v[0:1], off offset:24
	v_mov_b32_e32 v1, 0
	s_waitcnt vmcnt(0)
	v_readfirstlane_b32 s14, v0
	s_and_b32 m0, s14, 0xffffff
	global_store_dwordx2 v[2:3], v[0:1], off
	s_sendmsg sendmsg(MSG_INTERRUPT)
.LBB2_269:
	s_or_b64 exec, exec, s[12:13]
	s_branch .LBB2_273
.LBB2_270:                              ;   in Loop: Header=BB2_273 Depth=1
	s_or_b64 exec, exec, s[12:13]
	v_readfirstlane_b32 s12, v0
	s_cmp_eq_u32 s12, 0
	s_cbranch_scc1 .LBB2_272
; %bb.271:                              ;   in Loop: Header=BB2_273 Depth=1
	s_sleep 1
	s_cbranch_execnz .LBB2_273
	s_branch .LBB2_275
.LBB2_272:
	s_branch .LBB2_275
.LBB2_273:                              ; =>This Inner Loop Header: Depth=1
	v_mov_b32_e32 v0, 1
	s_and_saveexec_b64 s[12:13], s[4:5]
	s_cbranch_execz .LBB2_270
; %bb.274:                              ;   in Loop: Header=BB2_273 Depth=1
	global_load_dword v0, v[10:11], off offset:20 glc
	s_waitcnt vmcnt(0)
	buffer_wbinvl1_vol
	v_and_b32_e32 v0, 1, v0
	s_branch .LBB2_270
.LBB2_275:
	global_load_dwordx2 v[4:5], v[8:9], off
	s_and_saveexec_b64 s[12:13], s[4:5]
	s_cbranch_execz .LBB2_278
; %bb.276:
	v_mov_b32_e32 v8, 0
	global_load_dwordx2 v[0:1], v8, s[10:11] offset:40
	global_load_dwordx2 v[11:12], v8, s[10:11] offset:24 glc
	global_load_dwordx2 v[2:3], v8, s[10:11]
	s_waitcnt vmcnt(2)
	v_readfirstlane_b32 s14, v0
	v_readfirstlane_b32 s15, v1
	s_add_u32 s16, s14, 1
	s_addc_u32 s17, s15, 0
	s_add_u32 s4, s16, s6
	s_addc_u32 s5, s17, s7
	s_cmp_eq_u64 s[4:5], 0
	s_cselect_b32 s5, s17, s5
	s_cselect_b32 s4, s16, s4
	s_and_b64 s[6:7], s[4:5], s[14:15]
	s_mul_i32 s7, s7, 24
	s_mul_hi_u32 s14, s6, 24
	s_mul_i32 s6, s6, 24
	s_add_i32 s7, s14, s7
	v_mov_b32_e32 v0, s7
	s_waitcnt vmcnt(0)
	v_add_co_u32_e32 v6, vcc, s6, v2
	v_addc_co_u32_e32 v7, vcc, v3, v0, vcc
	v_mov_b32_e32 v9, s4
	global_store_dwordx2 v[6:7], v[11:12], off
	v_mov_b32_e32 v10, s5
	s_waitcnt vmcnt(0)
	global_atomic_cmpswap_x2 v[2:3], v8, v[9:12], s[10:11] offset:24 glc
	s_mov_b64 s[6:7], 0
	s_waitcnt vmcnt(0)
	v_cmp_ne_u64_e32 vcc, v[2:3], v[11:12]
	s_and_b64 exec, exec, vcc
	s_cbranch_execz .LBB2_278
.LBB2_277:                              ; =>This Inner Loop Header: Depth=1
	s_sleep 1
	global_store_dwordx2 v[6:7], v[2:3], off
	v_mov_b32_e32 v0, s4
	v_mov_b32_e32 v1, s5
	s_waitcnt vmcnt(0)
	global_atomic_cmpswap_x2 v[0:1], v8, v[0:3], s[10:11] offset:24 glc
	s_waitcnt vmcnt(0)
	v_cmp_eq_u64_e32 vcc, v[0:1], v[2:3]
	v_mov_b32_e32 v3, v1
	s_or_b64 s[6:7], vcc, s[6:7]
	v_mov_b32_e32 v2, v0
	s_andn2_b64 exec, exec, s[6:7]
	s_cbranch_execnz .LBB2_277
.LBB2_278:
	s_or_b64 exec, exec, s[12:13]
	v_mov_b32_e32 v0, 0
	s_getpc_b64 s[4:5]
	s_add_u32 s4, s4, __PRETTY_FUNCTION__._Z7moeTopKILi256EEvPKfPKbPfPiS5_iiii@rel32@lo+4
	s_addc_u32 s5, s5, __PRETTY_FUNCTION__._Z7moeTopKILi256EEvPKfPKbPfPiS5_iiii@rel32@hi+12
.LBB2_279:                              ; =>This Inner Loop Header: Depth=1
	global_load_ubyte v1, v0, s[4:5]
	s_add_u32 s12, s4, 1
	s_addc_u32 s13, s5, 0
	s_mov_b64 s[4:5], s[12:13]
	s_waitcnt vmcnt(0)
	v_cmp_ne_u32_e32 vcc, 0, v1
	s_cbranch_vccnz .LBB2_279
; %bb.280:
	s_getpc_b64 s[6:7]
	s_add_u32 s6, s6, __PRETTY_FUNCTION__._Z7moeTopKILi256EEvPKfPKbPfPiS5_iiii@rel32@lo+4
	s_addc_u32 s7, s7, __PRETTY_FUNCTION__._Z7moeTopKILi256EEvPKfPKbPfPiS5_iiii@rel32@hi+12
	s_cmp_lg_u64 s[6:7], 0
	s_cbranch_scc0 .LBB2_365
; %bb.281:
	s_sub_i32 s12, s12, s6
	s_ashr_i32 s13, s12, 31
	v_and_b32_e32 v29, 2, v4
	v_mov_b32_e32 v26, 0
	v_and_b32_e32 v0, -3, v4
	v_mov_b32_e32 v1, v5
	v_mov_b32_e32 v8, 2
	;; [unrolled: 1-line block ×3, first 2 shown]
	s_branch .LBB2_283
.LBB2_282:                              ;   in Loop: Header=BB2_283 Depth=1
	s_or_b64 exec, exec, s[18:19]
	s_sub_u32 s12, s12, s14
	s_subb_u32 s13, s13, s15
	s_add_u32 s6, s6, s14
	s_addc_u32 s7, s7, s15
	s_cmp_lg_u64 s[12:13], 0
	s_cbranch_scc0 .LBB2_366
.LBB2_283:                              ; =>This Loop Header: Depth=1
                                        ;     Child Loop BB2_286 Depth 2
                                        ;     Child Loop BB2_294 Depth 2
	;; [unrolled: 1-line block ×11, first 2 shown]
	v_cmp_lt_u64_e64 s[4:5], s[12:13], 56
	v_cmp_gt_u64_e64 s[16:17], s[12:13], 7
	s_and_b64 s[4:5], s[4:5], exec
	s_cselect_b32 s15, s13, 0
	s_cselect_b32 s14, s12, 56
	s_add_u32 s4, s6, 8
	s_addc_u32 s5, s7, 0
	s_and_b64 vcc, exec, s[16:17]
	s_cbranch_vccnz .LBB2_287
; %bb.284:                              ;   in Loop: Header=BB2_283 Depth=1
	s_cmp_eq_u64 s[12:13], 0
	s_cbranch_scc1 .LBB2_288
; %bb.285:                              ;   in Loop: Header=BB2_283 Depth=1
	v_mov_b32_e32 v2, 0
	s_lshl_b64 s[4:5], s[14:15], 3
	s_mov_b64 s[16:17], 0
	v_mov_b32_e32 v3, 0
	s_mov_b64 s[18:19], s[6:7]
.LBB2_286:                              ;   Parent Loop BB2_283 Depth=1
                                        ; =>  This Inner Loop Header: Depth=2
	global_load_ubyte v6, v26, s[18:19]
	s_waitcnt vmcnt(0)
	v_and_b32_e32 v25, 0xffff, v6
	v_lshlrev_b64 v[6:7], s16, v[25:26]
	s_add_u32 s16, s16, 8
	s_addc_u32 s17, s17, 0
	s_add_u32 s18, s18, 1
	s_addc_u32 s19, s19, 0
	v_or_b32_e32 v2, v6, v2
	s_cmp_lg_u32 s4, s16
	v_or_b32_e32 v3, v7, v3
	s_cbranch_scc1 .LBB2_286
	s_branch .LBB2_289
.LBB2_287:                              ;   in Loop: Header=BB2_283 Depth=1
	s_mov_b32 s20, 0
	s_branch .LBB2_290
.LBB2_288:                              ;   in Loop: Header=BB2_283 Depth=1
	v_mov_b32_e32 v2, 0
	v_mov_b32_e32 v3, 0
.LBB2_289:                              ;   in Loop: Header=BB2_283 Depth=1
	s_mov_b64 s[4:5], s[6:7]
	s_mov_b32 s20, 0
	s_cbranch_execnz .LBB2_291
.LBB2_290:                              ;   in Loop: Header=BB2_283 Depth=1
	global_load_dwordx2 v[2:3], v26, s[6:7]
	s_add_i32 s20, s14, -8
.LBB2_291:                              ;   in Loop: Header=BB2_283 Depth=1
	s_add_u32 s16, s4, 8
	s_addc_u32 s17, s5, 0
	s_cmp_gt_u32 s20, 7
	s_cbranch_scc1 .LBB2_295
; %bb.292:                              ;   in Loop: Header=BB2_283 Depth=1
	s_cmp_eq_u32 s20, 0
	s_cbranch_scc1 .LBB2_296
; %bb.293:                              ;   in Loop: Header=BB2_283 Depth=1
	v_mov_b32_e32 v10, 0
	s_mov_b64 s[16:17], 0
	v_mov_b32_e32 v11, 0
	s_mov_b64 s[18:19], 0
.LBB2_294:                              ;   Parent Loop BB2_283 Depth=1
                                        ; =>  This Inner Loop Header: Depth=2
	s_add_u32 s22, s4, s18
	s_addc_u32 s23, s5, s19
	global_load_ubyte v6, v26, s[22:23]
	s_add_u32 s18, s18, 1
	s_addc_u32 s19, s19, 0
	s_waitcnt vmcnt(0)
	v_and_b32_e32 v25, 0xffff, v6
	v_lshlrev_b64 v[6:7], s16, v[25:26]
	s_add_u32 s16, s16, 8
	s_addc_u32 s17, s17, 0
	v_or_b32_e32 v10, v6, v10
	s_cmp_lg_u32 s20, s18
	v_or_b32_e32 v11, v7, v11
	s_cbranch_scc1 .LBB2_294
	s_branch .LBB2_297
.LBB2_295:                              ;   in Loop: Header=BB2_283 Depth=1
                                        ; implicit-def: $vgpr10_vgpr11
	s_mov_b32 s21, 0
	s_branch .LBB2_298
.LBB2_296:                              ;   in Loop: Header=BB2_283 Depth=1
	v_mov_b32_e32 v10, 0
	v_mov_b32_e32 v11, 0
.LBB2_297:                              ;   in Loop: Header=BB2_283 Depth=1
	s_mov_b64 s[16:17], s[4:5]
	s_mov_b32 s21, 0
	s_cbranch_execnz .LBB2_299
.LBB2_298:                              ;   in Loop: Header=BB2_283 Depth=1
	global_load_dwordx2 v[10:11], v26, s[4:5]
	s_add_i32 s21, s20, -8
.LBB2_299:                              ;   in Loop: Header=BB2_283 Depth=1
	s_add_u32 s4, s16, 8
	s_addc_u32 s5, s17, 0
	s_cmp_gt_u32 s21, 7
	s_cbranch_scc1 .LBB2_303
; %bb.300:                              ;   in Loop: Header=BB2_283 Depth=1
	s_cmp_eq_u32 s21, 0
	s_cbranch_scc1 .LBB2_304
; %bb.301:                              ;   in Loop: Header=BB2_283 Depth=1
	v_mov_b32_e32 v12, 0
	s_mov_b64 s[4:5], 0
	v_mov_b32_e32 v13, 0
	s_mov_b64 s[18:19], 0
.LBB2_302:                              ;   Parent Loop BB2_283 Depth=1
                                        ; =>  This Inner Loop Header: Depth=2
	s_add_u32 s22, s16, s18
	s_addc_u32 s23, s17, s19
	global_load_ubyte v6, v26, s[22:23]
	s_add_u32 s18, s18, 1
	s_addc_u32 s19, s19, 0
	s_waitcnt vmcnt(0)
	v_and_b32_e32 v25, 0xffff, v6
	v_lshlrev_b64 v[6:7], s4, v[25:26]
	s_add_u32 s4, s4, 8
	s_addc_u32 s5, s5, 0
	v_or_b32_e32 v12, v6, v12
	s_cmp_lg_u32 s21, s18
	v_or_b32_e32 v13, v7, v13
	s_cbranch_scc1 .LBB2_302
	s_branch .LBB2_305
.LBB2_303:                              ;   in Loop: Header=BB2_283 Depth=1
	s_mov_b32 s20, 0
	s_branch .LBB2_306
.LBB2_304:                              ;   in Loop: Header=BB2_283 Depth=1
	v_mov_b32_e32 v12, 0
	v_mov_b32_e32 v13, 0
.LBB2_305:                              ;   in Loop: Header=BB2_283 Depth=1
	s_mov_b64 s[4:5], s[16:17]
	s_mov_b32 s20, 0
	s_cbranch_execnz .LBB2_307
.LBB2_306:                              ;   in Loop: Header=BB2_283 Depth=1
	global_load_dwordx2 v[12:13], v26, s[16:17]
	s_add_i32 s20, s21, -8
.LBB2_307:                              ;   in Loop: Header=BB2_283 Depth=1
	s_add_u32 s16, s4, 8
	s_addc_u32 s17, s5, 0
	s_cmp_gt_u32 s20, 7
	s_cbranch_scc1 .LBB2_311
; %bb.308:                              ;   in Loop: Header=BB2_283 Depth=1
	s_cmp_eq_u32 s20, 0
	s_cbranch_scc1 .LBB2_312
; %bb.309:                              ;   in Loop: Header=BB2_283 Depth=1
	v_mov_b32_e32 v14, 0
	s_mov_b64 s[16:17], 0
	v_mov_b32_e32 v15, 0
	s_mov_b64 s[18:19], 0
.LBB2_310:                              ;   Parent Loop BB2_283 Depth=1
                                        ; =>  This Inner Loop Header: Depth=2
	s_add_u32 s22, s4, s18
	s_addc_u32 s23, s5, s19
	global_load_ubyte v6, v26, s[22:23]
	s_add_u32 s18, s18, 1
	s_addc_u32 s19, s19, 0
	s_waitcnt vmcnt(0)
	v_and_b32_e32 v25, 0xffff, v6
	v_lshlrev_b64 v[6:7], s16, v[25:26]
	s_add_u32 s16, s16, 8
	s_addc_u32 s17, s17, 0
	v_or_b32_e32 v14, v6, v14
	s_cmp_lg_u32 s20, s18
	v_or_b32_e32 v15, v7, v15
	s_cbranch_scc1 .LBB2_310
	s_branch .LBB2_313
.LBB2_311:                              ;   in Loop: Header=BB2_283 Depth=1
                                        ; implicit-def: $vgpr14_vgpr15
	s_mov_b32 s21, 0
	s_branch .LBB2_314
.LBB2_312:                              ;   in Loop: Header=BB2_283 Depth=1
	v_mov_b32_e32 v14, 0
	v_mov_b32_e32 v15, 0
.LBB2_313:                              ;   in Loop: Header=BB2_283 Depth=1
	s_mov_b64 s[16:17], s[4:5]
	s_mov_b32 s21, 0
	s_cbranch_execnz .LBB2_315
.LBB2_314:                              ;   in Loop: Header=BB2_283 Depth=1
	global_load_dwordx2 v[14:15], v26, s[4:5]
	s_add_i32 s21, s20, -8
.LBB2_315:                              ;   in Loop: Header=BB2_283 Depth=1
	s_add_u32 s4, s16, 8
	s_addc_u32 s5, s17, 0
	s_cmp_gt_u32 s21, 7
	s_cbranch_scc1 .LBB2_319
; %bb.316:                              ;   in Loop: Header=BB2_283 Depth=1
	s_cmp_eq_u32 s21, 0
	s_cbranch_scc1 .LBB2_320
; %bb.317:                              ;   in Loop: Header=BB2_283 Depth=1
	v_mov_b32_e32 v16, 0
	s_mov_b64 s[4:5], 0
	v_mov_b32_e32 v17, 0
	s_mov_b64 s[18:19], 0
.LBB2_318:                              ;   Parent Loop BB2_283 Depth=1
                                        ; =>  This Inner Loop Header: Depth=2
	s_add_u32 s22, s16, s18
	s_addc_u32 s23, s17, s19
	global_load_ubyte v6, v26, s[22:23]
	s_add_u32 s18, s18, 1
	s_addc_u32 s19, s19, 0
	s_waitcnt vmcnt(0)
	v_and_b32_e32 v25, 0xffff, v6
	v_lshlrev_b64 v[6:7], s4, v[25:26]
	s_add_u32 s4, s4, 8
	s_addc_u32 s5, s5, 0
	v_or_b32_e32 v16, v6, v16
	s_cmp_lg_u32 s21, s18
	v_or_b32_e32 v17, v7, v17
	s_cbranch_scc1 .LBB2_318
	s_branch .LBB2_321
.LBB2_319:                              ;   in Loop: Header=BB2_283 Depth=1
	s_mov_b32 s20, 0
	s_branch .LBB2_322
.LBB2_320:                              ;   in Loop: Header=BB2_283 Depth=1
	v_mov_b32_e32 v16, 0
	v_mov_b32_e32 v17, 0
.LBB2_321:                              ;   in Loop: Header=BB2_283 Depth=1
	s_mov_b64 s[4:5], s[16:17]
	s_mov_b32 s20, 0
	s_cbranch_execnz .LBB2_323
.LBB2_322:                              ;   in Loop: Header=BB2_283 Depth=1
	global_load_dwordx2 v[16:17], v26, s[16:17]
	s_add_i32 s20, s21, -8
.LBB2_323:                              ;   in Loop: Header=BB2_283 Depth=1
	s_add_u32 s16, s4, 8
	s_addc_u32 s17, s5, 0
	s_cmp_gt_u32 s20, 7
	s_cbranch_scc1 .LBB2_327
; %bb.324:                              ;   in Loop: Header=BB2_283 Depth=1
	s_cmp_eq_u32 s20, 0
	s_cbranch_scc1 .LBB2_328
; %bb.325:                              ;   in Loop: Header=BB2_283 Depth=1
	v_mov_b32_e32 v18, 0
	s_mov_b64 s[16:17], 0
	v_mov_b32_e32 v19, 0
	s_mov_b64 s[18:19], 0
.LBB2_326:                              ;   Parent Loop BB2_283 Depth=1
                                        ; =>  This Inner Loop Header: Depth=2
	s_add_u32 s22, s4, s18
	s_addc_u32 s23, s5, s19
	global_load_ubyte v6, v26, s[22:23]
	s_add_u32 s18, s18, 1
	s_addc_u32 s19, s19, 0
	s_waitcnt vmcnt(0)
	v_and_b32_e32 v25, 0xffff, v6
	v_lshlrev_b64 v[6:7], s16, v[25:26]
	s_add_u32 s16, s16, 8
	s_addc_u32 s17, s17, 0
	v_or_b32_e32 v18, v6, v18
	s_cmp_lg_u32 s20, s18
	v_or_b32_e32 v19, v7, v19
	s_cbranch_scc1 .LBB2_326
	s_branch .LBB2_329
.LBB2_327:                              ;   in Loop: Header=BB2_283 Depth=1
                                        ; implicit-def: $vgpr18_vgpr19
	s_mov_b32 s21, 0
	s_branch .LBB2_330
.LBB2_328:                              ;   in Loop: Header=BB2_283 Depth=1
	v_mov_b32_e32 v18, 0
	v_mov_b32_e32 v19, 0
.LBB2_329:                              ;   in Loop: Header=BB2_283 Depth=1
	s_mov_b64 s[16:17], s[4:5]
	s_mov_b32 s21, 0
	s_cbranch_execnz .LBB2_331
.LBB2_330:                              ;   in Loop: Header=BB2_283 Depth=1
	global_load_dwordx2 v[18:19], v26, s[4:5]
	s_add_i32 s21, s20, -8
.LBB2_331:                              ;   in Loop: Header=BB2_283 Depth=1
	s_cmp_gt_u32 s21, 7
	s_cbranch_scc1 .LBB2_335
; %bb.332:                              ;   in Loop: Header=BB2_283 Depth=1
	s_cmp_eq_u32 s21, 0
	s_cbranch_scc1 .LBB2_336
; %bb.333:                              ;   in Loop: Header=BB2_283 Depth=1
	v_mov_b32_e32 v20, 0
	s_mov_b64 s[4:5], 0
	v_mov_b32_e32 v21, 0
	s_mov_b64 s[18:19], s[16:17]
.LBB2_334:                              ;   Parent Loop BB2_283 Depth=1
                                        ; =>  This Inner Loop Header: Depth=2
	global_load_ubyte v6, v26, s[18:19]
	s_add_i32 s21, s21, -1
	s_waitcnt vmcnt(0)
	v_and_b32_e32 v25, 0xffff, v6
	v_lshlrev_b64 v[6:7], s4, v[25:26]
	s_add_u32 s4, s4, 8
	s_addc_u32 s5, s5, 0
	s_add_u32 s18, s18, 1
	s_addc_u32 s19, s19, 0
	v_or_b32_e32 v20, v6, v20
	s_cmp_lg_u32 s21, 0
	v_or_b32_e32 v21, v7, v21
	s_cbranch_scc1 .LBB2_334
	s_branch .LBB2_337
.LBB2_335:                              ;   in Loop: Header=BB2_283 Depth=1
	s_branch .LBB2_338
.LBB2_336:                              ;   in Loop: Header=BB2_283 Depth=1
	v_mov_b32_e32 v20, 0
	v_mov_b32_e32 v21, 0
.LBB2_337:                              ;   in Loop: Header=BB2_283 Depth=1
	s_cbranch_execnz .LBB2_339
.LBB2_338:                              ;   in Loop: Header=BB2_283 Depth=1
	global_load_dwordx2 v[20:21], v26, s[16:17]
.LBB2_339:                              ;   in Loop: Header=BB2_283 Depth=1
	v_readfirstlane_b32 s4, v32
	v_mov_b32_e32 v6, 0
	v_mov_b32_e32 v7, 0
	v_cmp_eq_u32_e64 s[4:5], s4, v32
	s_and_saveexec_b64 s[16:17], s[4:5]
	s_cbranch_execz .LBB2_345
; %bb.340:                              ;   in Loop: Header=BB2_283 Depth=1
	global_load_dwordx2 v[24:25], v26, s[10:11] offset:24 glc
	s_waitcnt vmcnt(0)
	buffer_wbinvl1_vol
	global_load_dwordx2 v[6:7], v26, s[10:11] offset:40
	global_load_dwordx2 v[22:23], v26, s[10:11]
	s_waitcnt vmcnt(1)
	v_and_b32_e32 v6, v6, v24
	v_and_b32_e32 v7, v7, v25
	v_mul_lo_u32 v7, v7, 24
	v_mul_hi_u32 v27, v6, 24
	v_mul_lo_u32 v6, v6, 24
	v_add_u32_e32 v7, v27, v7
	s_waitcnt vmcnt(0)
	v_add_co_u32_e32 v6, vcc, v22, v6
	v_addc_co_u32_e32 v7, vcc, v23, v7, vcc
	global_load_dwordx2 v[22:23], v[6:7], off glc
	s_waitcnt vmcnt(0)
	global_atomic_cmpswap_x2 v[6:7], v26, v[22:25], s[10:11] offset:24 glc
	s_waitcnt vmcnt(0)
	buffer_wbinvl1_vol
	v_cmp_ne_u64_e32 vcc, v[6:7], v[24:25]
	s_and_saveexec_b64 s[18:19], vcc
	s_cbranch_execz .LBB2_344
; %bb.341:                              ;   in Loop: Header=BB2_283 Depth=1
	s_mov_b64 s[20:21], 0
.LBB2_342:                              ;   Parent Loop BB2_283 Depth=1
                                        ; =>  This Inner Loop Header: Depth=2
	s_sleep 1
	global_load_dwordx2 v[22:23], v26, s[10:11] offset:40
	global_load_dwordx2 v[27:28], v26, s[10:11]
	v_mov_b32_e32 v25, v7
	v_mov_b32_e32 v24, v6
	s_waitcnt vmcnt(1)
	v_and_b32_e32 v6, v22, v24
	s_waitcnt vmcnt(0)
	v_mad_u64_u32 v[6:7], s[22:23], v6, 24, v[27:28]
	v_and_b32_e32 v22, v23, v25
	v_mad_u64_u32 v[22:23], s[22:23], v22, 24, v[7:8]
	v_mov_b32_e32 v7, v22
	global_load_dwordx2 v[22:23], v[6:7], off glc
	s_waitcnt vmcnt(0)
	global_atomic_cmpswap_x2 v[6:7], v26, v[22:25], s[10:11] offset:24 glc
	s_waitcnt vmcnt(0)
	buffer_wbinvl1_vol
	v_cmp_eq_u64_e32 vcc, v[6:7], v[24:25]
	s_or_b64 s[20:21], vcc, s[20:21]
	s_andn2_b64 exec, exec, s[20:21]
	s_cbranch_execnz .LBB2_342
; %bb.343:                              ;   in Loop: Header=BB2_283 Depth=1
	s_or_b64 exec, exec, s[20:21]
.LBB2_344:                              ;   in Loop: Header=BB2_283 Depth=1
	s_or_b64 exec, exec, s[18:19]
.LBB2_345:                              ;   in Loop: Header=BB2_283 Depth=1
	s_or_b64 exec, exec, s[16:17]
	global_load_dwordx2 v[27:28], v26, s[10:11] offset:40
	global_load_dwordx4 v[22:25], v26, s[10:11]
	v_readfirstlane_b32 s17, v7
	v_readfirstlane_b32 s16, v6
	s_mov_b64 s[18:19], exec
	s_waitcnt vmcnt(1)
	v_readfirstlane_b32 s20, v27
	v_readfirstlane_b32 s21, v28
	s_and_b64 s[20:21], s[20:21], s[16:17]
	s_mul_i32 s22, s21, 24
	s_mul_hi_u32 s23, s20, 24
	s_mul_i32 s24, s20, 24
	s_add_i32 s22, s23, s22
	v_mov_b32_e32 v6, s22
	s_waitcnt vmcnt(0)
	v_add_co_u32_e32 v27, vcc, s24, v22
	v_addc_co_u32_e32 v28, vcc, v23, v6, vcc
	s_and_saveexec_b64 s[22:23], s[4:5]
	s_cbranch_execz .LBB2_347
; %bb.346:                              ;   in Loop: Header=BB2_283 Depth=1
	v_mov_b32_e32 v6, s18
	v_mov_b32_e32 v7, s19
	global_store_dwordx4 v[27:28], v[6:9], off offset:8
.LBB2_347:                              ;   in Loop: Header=BB2_283 Depth=1
	s_or_b64 exec, exec, s[22:23]
	s_lshl_b64 s[18:19], s[20:21], 12
	v_mov_b32_e32 v6, s19
	v_add_co_u32_e32 v24, vcc, s18, v24
	v_addc_co_u32_e32 v30, vcc, v25, v6, vcc
	v_cmp_lt_u64_e64 vcc, s[12:13], 57
	s_lshl_b32 s18, s14, 2
	v_cndmask_b32_e32 v6, 0, v29, vcc
	s_add_i32 s18, s18, 28
	v_and_b32_e32 v0, 0xffffff1f, v0
	s_and_b32 s18, s18, 0x1e0
	v_or_b32_e32 v0, v0, v6
	v_or_b32_e32 v0, s18, v0
	v_readfirstlane_b32 s18, v24
	v_readfirstlane_b32 s19, v30
	s_nop 4
	global_store_dwordx4 v33, v[0:3], s[18:19]
	global_store_dwordx4 v33, v[10:13], s[18:19] offset:16
	global_store_dwordx4 v33, v[14:17], s[18:19] offset:32
	;; [unrolled: 1-line block ×3, first 2 shown]
	s_and_saveexec_b64 s[18:19], s[4:5]
	s_cbranch_execz .LBB2_355
; %bb.348:                              ;   in Loop: Header=BB2_283 Depth=1
	global_load_dwordx2 v[12:13], v26, s[10:11] offset:32 glc
	global_load_dwordx2 v[0:1], v26, s[10:11] offset:40
	v_mov_b32_e32 v10, s16
	v_mov_b32_e32 v11, s17
	s_waitcnt vmcnt(0)
	v_readfirstlane_b32 s20, v0
	v_readfirstlane_b32 s21, v1
	s_and_b64 s[20:21], s[20:21], s[16:17]
	s_mul_i32 s21, s21, 24
	s_mul_hi_u32 s22, s20, 24
	s_mul_i32 s20, s20, 24
	s_add_i32 s21, s22, s21
	v_mov_b32_e32 v0, s21
	v_add_co_u32_e32 v6, vcc, s20, v22
	v_addc_co_u32_e32 v7, vcc, v23, v0, vcc
	global_store_dwordx2 v[6:7], v[12:13], off
	s_waitcnt vmcnt(0)
	global_atomic_cmpswap_x2 v[2:3], v26, v[10:13], s[10:11] offset:32 glc
	s_waitcnt vmcnt(0)
	v_cmp_ne_u64_e32 vcc, v[2:3], v[12:13]
	s_and_saveexec_b64 s[20:21], vcc
	s_cbranch_execz .LBB2_351
; %bb.349:                              ;   in Loop: Header=BB2_283 Depth=1
	s_mov_b64 s[22:23], 0
.LBB2_350:                              ;   Parent Loop BB2_283 Depth=1
                                        ; =>  This Inner Loop Header: Depth=2
	s_sleep 1
	global_store_dwordx2 v[6:7], v[2:3], off
	v_mov_b32_e32 v0, s16
	v_mov_b32_e32 v1, s17
	s_waitcnt vmcnt(0)
	global_atomic_cmpswap_x2 v[0:1], v26, v[0:3], s[10:11] offset:32 glc
	s_waitcnt vmcnt(0)
	v_cmp_eq_u64_e32 vcc, v[0:1], v[2:3]
	v_mov_b32_e32 v3, v1
	s_or_b64 s[22:23], vcc, s[22:23]
	v_mov_b32_e32 v2, v0
	s_andn2_b64 exec, exec, s[22:23]
	s_cbranch_execnz .LBB2_350
.LBB2_351:                              ;   in Loop: Header=BB2_283 Depth=1
	s_or_b64 exec, exec, s[20:21]
	global_load_dwordx2 v[0:1], v26, s[10:11] offset:16
	s_mov_b64 s[22:23], exec
	v_mbcnt_lo_u32_b32 v2, s22, 0
	v_mbcnt_hi_u32_b32 v2, s23, v2
	v_cmp_eq_u32_e32 vcc, 0, v2
	s_and_saveexec_b64 s[20:21], vcc
	s_cbranch_execz .LBB2_353
; %bb.352:                              ;   in Loop: Header=BB2_283 Depth=1
	s_bcnt1_i32_b64 s22, s[22:23]
	v_mov_b32_e32 v25, s22
	s_waitcnt vmcnt(0)
	global_atomic_add_x2 v[0:1], v[25:26], off offset:8
.LBB2_353:                              ;   in Loop: Header=BB2_283 Depth=1
	s_or_b64 exec, exec, s[20:21]
	s_waitcnt vmcnt(0)
	global_load_dwordx2 v[2:3], v[0:1], off offset:16
	s_waitcnt vmcnt(0)
	v_cmp_eq_u64_e32 vcc, 0, v[2:3]
	s_cbranch_vccnz .LBB2_355
; %bb.354:                              ;   in Loop: Header=BB2_283 Depth=1
	global_load_dword v25, v[0:1], off offset:24
	s_waitcnt vmcnt(0)
	v_readfirstlane_b32 s20, v25
	s_and_b32 m0, s20, 0xffffff
	global_store_dwordx2 v[2:3], v[25:26], off
	s_sendmsg sendmsg(MSG_INTERRUPT)
.LBB2_355:                              ;   in Loop: Header=BB2_283 Depth=1
	s_or_b64 exec, exec, s[18:19]
	v_add_co_u32_e32 v0, vcc, v24, v33
	v_addc_co_u32_e32 v1, vcc, 0, v30, vcc
	s_branch .LBB2_359
.LBB2_356:                              ;   in Loop: Header=BB2_359 Depth=2
	s_or_b64 exec, exec, s[18:19]
	v_readfirstlane_b32 s18, v2
	s_cmp_eq_u32 s18, 0
	s_cbranch_scc1 .LBB2_358
; %bb.357:                              ;   in Loop: Header=BB2_359 Depth=2
	s_sleep 1
	s_cbranch_execnz .LBB2_359
	s_branch .LBB2_361
.LBB2_358:                              ;   in Loop: Header=BB2_283 Depth=1
	s_branch .LBB2_361
.LBB2_359:                              ;   Parent Loop BB2_283 Depth=1
                                        ; =>  This Inner Loop Header: Depth=2
	v_mov_b32_e32 v2, 1
	s_and_saveexec_b64 s[18:19], s[4:5]
	s_cbranch_execz .LBB2_356
; %bb.360:                              ;   in Loop: Header=BB2_359 Depth=2
	global_load_dword v2, v[27:28], off offset:20 glc
	s_waitcnt vmcnt(0)
	buffer_wbinvl1_vol
	v_and_b32_e32 v2, 1, v2
	s_branch .LBB2_356
.LBB2_361:                              ;   in Loop: Header=BB2_283 Depth=1
	global_load_dwordx2 v[0:1], v[0:1], off
	s_and_saveexec_b64 s[18:19], s[4:5]
	s_cbranch_execz .LBB2_282
; %bb.362:                              ;   in Loop: Header=BB2_283 Depth=1
	global_load_dwordx2 v[2:3], v26, s[10:11] offset:40
	global_load_dwordx2 v[14:15], v26, s[10:11] offset:24 glc
	global_load_dwordx2 v[6:7], v26, s[10:11]
	s_waitcnt vmcnt(2)
	v_readfirstlane_b32 s20, v2
	v_readfirstlane_b32 s21, v3
	s_add_u32 s22, s20, 1
	s_addc_u32 s23, s21, 0
	s_add_u32 s4, s22, s16
	s_addc_u32 s5, s23, s17
	s_cmp_eq_u64 s[4:5], 0
	s_cselect_b32 s5, s23, s5
	s_cselect_b32 s4, s22, s4
	s_and_b64 s[16:17], s[4:5], s[20:21]
	s_mul_i32 s17, s17, 24
	s_mul_hi_u32 s20, s16, 24
	s_mul_i32 s16, s16, 24
	s_add_i32 s17, s20, s17
	v_mov_b32_e32 v3, s17
	s_waitcnt vmcnt(0)
	v_add_co_u32_e32 v2, vcc, s16, v6
	v_addc_co_u32_e32 v3, vcc, v7, v3, vcc
	v_mov_b32_e32 v12, s4
	global_store_dwordx2 v[2:3], v[14:15], off
	v_mov_b32_e32 v13, s5
	s_waitcnt vmcnt(0)
	global_atomic_cmpswap_x2 v[12:13], v26, v[12:15], s[10:11] offset:24 glc
	s_waitcnt vmcnt(0)
	v_cmp_ne_u64_e32 vcc, v[12:13], v[14:15]
	s_and_b64 exec, exec, vcc
	s_cbranch_execz .LBB2_282
; %bb.363:                              ;   in Loop: Header=BB2_283 Depth=1
	s_mov_b64 s[16:17], 0
.LBB2_364:                              ;   Parent Loop BB2_283 Depth=1
                                        ; =>  This Inner Loop Header: Depth=2
	s_sleep 1
	global_store_dwordx2 v[2:3], v[12:13], off
	v_mov_b32_e32 v10, s4
	v_mov_b32_e32 v11, s5
	s_waitcnt vmcnt(0)
	global_atomic_cmpswap_x2 v[6:7], v26, v[10:13], s[10:11] offset:24 glc
	s_waitcnt vmcnt(0)
	v_cmp_eq_u64_e32 vcc, v[6:7], v[12:13]
	v_mov_b32_e32 v13, v7
	s_or_b64 s[16:17], vcc, s[16:17]
	v_mov_b32_e32 v12, v6
	s_andn2_b64 exec, exec, s[16:17]
	s_cbranch_execnz .LBB2_364
	s_branch .LBB2_282
.LBB2_365:
                                        ; implicit-def: $vgpr0_vgpr1
	s_cbranch_execnz .LBB2_367
	s_branch .LBB2_393
.LBB2_366:
	s_branch .LBB2_393
.LBB2_367:
	v_readfirstlane_b32 s4, v32
	v_mov_b32_e32 v7, 0
	v_mov_b32_e32 v8, 0
	v_cmp_eq_u32_e64 s[4:5], s4, v32
	s_and_saveexec_b64 s[6:7], s[4:5]
	s_cbranch_execz .LBB2_373
; %bb.368:
	s_waitcnt vmcnt(0)
	v_mov_b32_e32 v0, 0
	global_load_dwordx2 v[9:10], v0, s[10:11] offset:24 glc
	s_waitcnt vmcnt(0)
	buffer_wbinvl1_vol
	global_load_dwordx2 v[1:2], v0, s[10:11] offset:40
	global_load_dwordx2 v[6:7], v0, s[10:11]
	s_waitcnt vmcnt(1)
	v_and_b32_e32 v1, v1, v9
	v_and_b32_e32 v2, v2, v10
	v_mul_lo_u32 v2, v2, 24
	v_mul_hi_u32 v3, v1, 24
	v_mul_lo_u32 v1, v1, 24
	v_add_u32_e32 v2, v3, v2
	s_waitcnt vmcnt(0)
	v_add_co_u32_e32 v1, vcc, v6, v1
	v_addc_co_u32_e32 v2, vcc, v7, v2, vcc
	global_load_dwordx2 v[7:8], v[1:2], off glc
	s_waitcnt vmcnt(0)
	global_atomic_cmpswap_x2 v[7:8], v0, v[7:10], s[10:11] offset:24 glc
	s_waitcnt vmcnt(0)
	buffer_wbinvl1_vol
	v_cmp_ne_u64_e32 vcc, v[7:8], v[9:10]
	s_and_saveexec_b64 s[12:13], vcc
	s_cbranch_execz .LBB2_372
; %bb.369:
	s_mov_b64 s[14:15], 0
.LBB2_370:                              ; =>This Inner Loop Header: Depth=1
	s_sleep 1
	global_load_dwordx2 v[1:2], v0, s[10:11] offset:40
	global_load_dwordx2 v[11:12], v0, s[10:11]
	v_mov_b32_e32 v10, v8
	v_mov_b32_e32 v9, v7
	s_waitcnt vmcnt(1)
	v_and_b32_e32 v1, v1, v9
	s_waitcnt vmcnt(0)
	v_mad_u64_u32 v[6:7], s[16:17], v1, 24, v[11:12]
	v_and_b32_e32 v2, v2, v10
	v_mov_b32_e32 v1, v7
	v_mad_u64_u32 v[1:2], s[16:17], v2, 24, v[1:2]
	v_mov_b32_e32 v7, v1
	global_load_dwordx2 v[7:8], v[6:7], off glc
	s_waitcnt vmcnt(0)
	global_atomic_cmpswap_x2 v[7:8], v0, v[7:10], s[10:11] offset:24 glc
	s_waitcnt vmcnt(0)
	buffer_wbinvl1_vol
	v_cmp_eq_u64_e32 vcc, v[7:8], v[9:10]
	s_or_b64 s[14:15], vcc, s[14:15]
	s_andn2_b64 exec, exec, s[14:15]
	s_cbranch_execnz .LBB2_370
; %bb.371:
	s_or_b64 exec, exec, s[14:15]
.LBB2_372:
	s_or_b64 exec, exec, s[12:13]
.LBB2_373:
	s_or_b64 exec, exec, s[6:7]
	v_mov_b32_e32 v6, 0
	global_load_dwordx2 v[9:10], v6, s[10:11] offset:40
	global_load_dwordx4 v[0:3], v6, s[10:11]
	v_readfirstlane_b32 s7, v8
	v_readfirstlane_b32 s6, v7
	s_mov_b64 s[12:13], exec
	s_waitcnt vmcnt(1)
	v_readfirstlane_b32 s14, v9
	v_readfirstlane_b32 s15, v10
	s_and_b64 s[14:15], s[14:15], s[6:7]
	s_mul_i32 s16, s15, 24
	s_mul_hi_u32 s17, s14, 24
	s_mul_i32 s18, s14, 24
	s_add_i32 s16, s17, s16
	v_mov_b32_e32 v7, s16
	s_waitcnt vmcnt(0)
	v_add_co_u32_e32 v8, vcc, s18, v0
	v_addc_co_u32_e32 v9, vcc, v1, v7, vcc
	s_and_saveexec_b64 s[16:17], s[4:5]
	s_cbranch_execz .LBB2_375
; %bb.374:
	v_mov_b32_e32 v10, s12
	v_mov_b32_e32 v11, s13
	;; [unrolled: 1-line block ×4, first 2 shown]
	global_store_dwordx4 v[8:9], v[10:13], off offset:8
.LBB2_375:
	s_or_b64 exec, exec, s[16:17]
	s_lshl_b64 s[12:13], s[14:15], 12
	v_mov_b32_e32 v7, s13
	v_add_co_u32_e32 v2, vcc, s12, v2
	v_addc_co_u32_e32 v3, vcc, v3, v7, vcc
	s_movk_i32 s12, 0xff1f
	v_and_or_b32 v4, v4, s12, 32
	v_add_co_u32_e32 v10, vcc, v2, v33
	s_mov_b32 s12, 0
	v_mov_b32_e32 v7, v6
	v_readfirstlane_b32 s16, v2
	v_readfirstlane_b32 s17, v3
	v_addc_co_u32_e32 v11, vcc, 0, v3, vcc
	s_mov_b32 s13, s12
	s_mov_b32 s14, s12
	s_mov_b32 s15, s12
	s_nop 0
	global_store_dwordx4 v33, v[4:7], s[16:17]
	v_mov_b32_e32 v2, s12
	v_mov_b32_e32 v3, s13
	;; [unrolled: 1-line block ×4, first 2 shown]
	global_store_dwordx4 v33, v[2:5], s[16:17] offset:16
	global_store_dwordx4 v33, v[2:5], s[16:17] offset:32
	;; [unrolled: 1-line block ×3, first 2 shown]
	s_and_saveexec_b64 s[12:13], s[4:5]
	s_cbranch_execz .LBB2_383
; %bb.376:
	v_mov_b32_e32 v6, 0
	global_load_dwordx2 v[14:15], v6, s[10:11] offset:32 glc
	global_load_dwordx2 v[2:3], v6, s[10:11] offset:40
	v_mov_b32_e32 v12, s6
	v_mov_b32_e32 v13, s7
	s_waitcnt vmcnt(0)
	v_readfirstlane_b32 s14, v2
	v_readfirstlane_b32 s15, v3
	s_and_b64 s[14:15], s[14:15], s[6:7]
	s_mul_i32 s15, s15, 24
	s_mul_hi_u32 s16, s14, 24
	s_mul_i32 s14, s14, 24
	s_add_i32 s15, s16, s15
	v_mov_b32_e32 v2, s15
	v_add_co_u32_e32 v4, vcc, s14, v0
	v_addc_co_u32_e32 v5, vcc, v1, v2, vcc
	global_store_dwordx2 v[4:5], v[14:15], off
	s_waitcnt vmcnt(0)
	global_atomic_cmpswap_x2 v[2:3], v6, v[12:15], s[10:11] offset:32 glc
	s_waitcnt vmcnt(0)
	v_cmp_ne_u64_e32 vcc, v[2:3], v[14:15]
	s_and_saveexec_b64 s[14:15], vcc
	s_cbranch_execz .LBB2_379
; %bb.377:
	s_mov_b64 s[16:17], 0
.LBB2_378:                              ; =>This Inner Loop Header: Depth=1
	s_sleep 1
	global_store_dwordx2 v[4:5], v[2:3], off
	v_mov_b32_e32 v0, s6
	v_mov_b32_e32 v1, s7
	s_waitcnt vmcnt(0)
	global_atomic_cmpswap_x2 v[0:1], v6, v[0:3], s[10:11] offset:32 glc
	s_waitcnt vmcnt(0)
	v_cmp_eq_u64_e32 vcc, v[0:1], v[2:3]
	v_mov_b32_e32 v3, v1
	s_or_b64 s[16:17], vcc, s[16:17]
	v_mov_b32_e32 v2, v0
	s_andn2_b64 exec, exec, s[16:17]
	s_cbranch_execnz .LBB2_378
.LBB2_379:
	s_or_b64 exec, exec, s[14:15]
	v_mov_b32_e32 v3, 0
	global_load_dwordx2 v[0:1], v3, s[10:11] offset:16
	s_mov_b64 s[14:15], exec
	v_mbcnt_lo_u32_b32 v2, s14, 0
	v_mbcnt_hi_u32_b32 v2, s15, v2
	v_cmp_eq_u32_e32 vcc, 0, v2
	s_and_saveexec_b64 s[16:17], vcc
	s_cbranch_execz .LBB2_381
; %bb.380:
	s_bcnt1_i32_b64 s14, s[14:15]
	v_mov_b32_e32 v2, s14
	s_waitcnt vmcnt(0)
	global_atomic_add_x2 v[0:1], v[2:3], off offset:8
.LBB2_381:
	s_or_b64 exec, exec, s[16:17]
	s_waitcnt vmcnt(0)
	global_load_dwordx2 v[2:3], v[0:1], off offset:16
	s_waitcnt vmcnt(0)
	v_cmp_eq_u64_e32 vcc, 0, v[2:3]
	s_cbranch_vccnz .LBB2_383
; %bb.382:
	global_load_dword v0, v[0:1], off offset:24
	v_mov_b32_e32 v1, 0
	s_waitcnt vmcnt(0)
	v_readfirstlane_b32 s14, v0
	s_and_b32 m0, s14, 0xffffff
	global_store_dwordx2 v[2:3], v[0:1], off
	s_sendmsg sendmsg(MSG_INTERRUPT)
.LBB2_383:
	s_or_b64 exec, exec, s[12:13]
	s_branch .LBB2_387
.LBB2_384:                              ;   in Loop: Header=BB2_387 Depth=1
	s_or_b64 exec, exec, s[12:13]
	v_readfirstlane_b32 s12, v0
	s_cmp_eq_u32 s12, 0
	s_cbranch_scc1 .LBB2_386
; %bb.385:                              ;   in Loop: Header=BB2_387 Depth=1
	s_sleep 1
	s_cbranch_execnz .LBB2_387
	s_branch .LBB2_389
.LBB2_386:
	s_branch .LBB2_389
.LBB2_387:                              ; =>This Inner Loop Header: Depth=1
	v_mov_b32_e32 v0, 1
	s_and_saveexec_b64 s[12:13], s[4:5]
	s_cbranch_execz .LBB2_384
; %bb.388:                              ;   in Loop: Header=BB2_387 Depth=1
	global_load_dword v0, v[8:9], off offset:20 glc
	s_waitcnt vmcnt(0)
	buffer_wbinvl1_vol
	v_and_b32_e32 v0, 1, v0
	s_branch .LBB2_384
.LBB2_389:
	global_load_dwordx2 v[0:1], v[10:11], off
	s_and_saveexec_b64 s[12:13], s[4:5]
	s_cbranch_execz .LBB2_392
; %bb.390:
	v_mov_b32_e32 v8, 0
	global_load_dwordx2 v[2:3], v8, s[10:11] offset:40
	global_load_dwordx2 v[11:12], v8, s[10:11] offset:24 glc
	global_load_dwordx2 v[4:5], v8, s[10:11]
	s_waitcnt vmcnt(2)
	v_readfirstlane_b32 s14, v2
	v_readfirstlane_b32 s15, v3
	s_add_u32 s16, s14, 1
	s_addc_u32 s17, s15, 0
	s_add_u32 s4, s16, s6
	s_addc_u32 s5, s17, s7
	s_cmp_eq_u64 s[4:5], 0
	s_cselect_b32 s5, s17, s5
	s_cselect_b32 s4, s16, s4
	s_and_b64 s[6:7], s[4:5], s[14:15]
	s_mul_i32 s7, s7, 24
	s_mul_hi_u32 s14, s6, 24
	s_mul_i32 s6, s6, 24
	s_add_i32 s7, s14, s7
	v_mov_b32_e32 v2, s7
	s_waitcnt vmcnt(0)
	v_add_co_u32_e32 v6, vcc, s6, v4
	v_addc_co_u32_e32 v7, vcc, v5, v2, vcc
	v_mov_b32_e32 v9, s4
	global_store_dwordx2 v[6:7], v[11:12], off
	v_mov_b32_e32 v10, s5
	s_waitcnt vmcnt(0)
	global_atomic_cmpswap_x2 v[4:5], v8, v[9:12], s[10:11] offset:24 glc
	s_mov_b64 s[6:7], 0
	s_waitcnt vmcnt(0)
	v_cmp_ne_u64_e32 vcc, v[4:5], v[11:12]
	s_and_b64 exec, exec, vcc
	s_cbranch_execz .LBB2_392
.LBB2_391:                              ; =>This Inner Loop Header: Depth=1
	s_sleep 1
	global_store_dwordx2 v[6:7], v[4:5], off
	v_mov_b32_e32 v2, s4
	v_mov_b32_e32 v3, s5
	s_waitcnt vmcnt(0)
	global_atomic_cmpswap_x2 v[2:3], v8, v[2:5], s[10:11] offset:24 glc
	s_waitcnt vmcnt(0)
	v_cmp_eq_u64_e32 vcc, v[2:3], v[4:5]
	v_mov_b32_e32 v5, v3
	s_or_b64 s[6:7], vcc, s[6:7]
	v_mov_b32_e32 v4, v2
	s_andn2_b64 exec, exec, s[6:7]
	s_cbranch_execnz .LBB2_391
.LBB2_392:
	s_or_b64 exec, exec, s[12:13]
.LBB2_393:
	s_getpc_b64 s[4:5]
	s_add_u32 s4, s4, .str.3@rel32@lo+4
	s_addc_u32 s5, s5, .str.3@rel32@hi+12
	s_getpc_b64 s[6:7]
	s_add_u32 s6, s6, .str.3@rel32@lo+22
	s_addc_u32 s7, s7, .str.3@rel32@hi+30
	s_sub_i32 s10, s6, s4
	s_ashr_i32 s11, s10, 31
	s_getpc_b64 s[6:7]
	s_add_u32 s6, s6, __ockl_fprintf_append_string_n@rel32@lo+4
	s_addc_u32 s7, s7, __ockl_fprintf_append_string_n@rel32@hi+12
	v_mov_b32_e32 v2, s4
	v_mov_b32_e32 v3, s5
	v_mov_b32_e32 v4, s10
	v_mov_b32_e32 v5, s11
	v_mov_b32_e32 v6, 1
	s_swappc_b64 s[30:31], s[6:7]
	s_trap 2
.Lfunc_end2:
	.size	__assert_fail, .Lfunc_end2-__assert_fail
                                        ; -- End function
	.set .L__assert_fail.num_vgpr, max(41, .L__ockl_fprintf_append_string_n.num_vgpr)
	.set .L__assert_fail.num_agpr, max(0, .L__ockl_fprintf_append_string_n.num_agpr)
	.set .L__assert_fail.numbered_sgpr, max(34, .L__ockl_fprintf_append_string_n.numbered_sgpr)
	.set .L__assert_fail.num_named_barrier, max(0, .L__ockl_fprintf_append_string_n.num_named_barrier)
	.set .L__assert_fail.private_seg_size, 64+max(.L__ockl_fprintf_append_string_n.private_seg_size)
	.set .L__assert_fail.uses_vcc, or(1, .L__ockl_fprintf_append_string_n.uses_vcc)
	.set .L__assert_fail.uses_flat_scratch, or(0, .L__ockl_fprintf_append_string_n.uses_flat_scratch)
	.set .L__assert_fail.has_dyn_sized_stack, or(0, .L__ockl_fprintf_append_string_n.has_dyn_sized_stack)
	.set .L__assert_fail.has_recursion, or(0, .L__ockl_fprintf_append_string_n.has_recursion)
	.set .L__assert_fail.has_indirect_call, or(0, .L__ockl_fprintf_append_string_n.has_indirect_call)
	.section	.AMDGPU.csdata,"",@progbits
; Function info:
; codeLenInByte = 13500
; TotalNumSgprs: 38
; NumVgprs: 41
; ScratchSize: 64
; MemoryBound: 0
	.section	.text._Z7moeTopKILi256EEvPKfPKbPfPiS5_iiii,"axG",@progbits,_Z7moeTopKILi256EEvPKfPKbPfPiS5_iiii,comdat
	.protected	_Z7moeTopKILi256EEvPKfPKbPfPiS5_iiii ; -- Begin function _Z7moeTopKILi256EEvPKfPKbPfPiS5_iiii
	.globl	_Z7moeTopKILi256EEvPKfPKbPfPiS5_iiii
	.p2align	8
	.type	_Z7moeTopKILi256EEvPKfPKbPfPiS5_iiii,@function
_Z7moeTopKILi256EEvPKfPKbPfPiS5_iiii:   ; @_Z7moeTopKILi256EEvPKfPKbPfPiS5_iiii
; %bb.0:
	s_add_u32 flat_scratch_lo, s6, s9
	s_addc_u32 flat_scratch_hi, s7, 0
	s_load_dwordx2 s[6:7], s[4:5], 0x8
	s_add_u32 s0, s0, s9
	s_addc_u32 s1, s1, 0
	s_mov_b32 s32, 0
	s_waitcnt lgkmcnt(0)
	s_cmp_eq_u64 s[6:7], 0
	s_cbranch_scc1 .LBB3_3
; %bb.1:
	s_ashr_i32 s9, s8, 31
	s_add_u32 s6, s6, s8
	s_addc_u32 s7, s7, s9
	v_mov_b32_e32 v1, 0
	global_load_ubyte v1, v1, s[6:7]
	s_waitcnt vmcnt(0)
	v_readfirstlane_b32 s6, v1
	s_bitcmp1_b32 s6, 0
	s_cselect_b64 s[6:7], -1, 0
	s_xor_b64 s[28:29], s[6:7], -1
	s_load_dwordx4 s[20:23], s[4:5], 0x28
	s_waitcnt lgkmcnt(0)
	s_cmp_lt_i32 s21, 1
	s_cbranch_scc0 .LBB3_4
.LBB3_2:
	s_endpgm
.LBB3_3:
	s_mov_b64 s[28:29], -1
	s_load_dwordx4 s[20:23], s[4:5], 0x28
	s_waitcnt lgkmcnt(0)
	s_cmp_lt_i32 s21, 1
	s_cbranch_scc1 .LBB3_2
.LBB3_4:
	v_mbcnt_lo_u32_b32 v1, -1, 0
	s_load_dwordx2 s[30:31], s[4:5], 0x0
	s_load_dwordx4 s[24:27], s[4:5], 0x10
	s_load_dwordx2 s[34:35], s[4:5], 0x20
	s_load_dword s9, s[4:5], 0x38
	s_mul_i32 s36, s21, s8
	v_mbcnt_hi_u32_b32 v1, -1, v1
	v_and_b32_e32 v6, 3, v1
	s_ashr_i32 s37, s36, 31
	v_cmp_ne_u32_e32 vcc, 3, v6
	s_lshl_b64 s[14:15], s[36:37], 2
	v_lshlrev_b32_e32 v2, 2, v1
	v_cmp_eq_u32_e64 s[16:17], 0, v1
	v_lshrrev_b32_e32 v4, 3, v0
	v_addc_co_u32_e32 v1, vcc, 0, v1, vcc
	s_waitcnt lgkmcnt(0)
	s_add_u32 s38, s26, s14
	s_mul_i32 s33, s20, s8
	v_cmp_gt_i32_e64 s[6:7], s20, v0
	s_mov_b32 s52, 0
	v_or_b32_e32 v3, 0xfc, v2
	v_and_b32_e32 v4, 0x78, v4
	v_cmp_gt_u32_e64 s[10:11], 64, v0
	v_lshlrev_b32_e32 v5, 3, v6
	v_lshlrev_b32_e32 v6, 2, v1
	v_or_b32_e32 v7, 8, v2
	v_cmp_eq_u32_e64 s[12:13], 0, v0
	s_addc_u32 s39, s27, s15
	s_mov_b64 s[40:41], 0
	v_mov_b32_e32 v8, 0
                                        ; implicit-def: $sgpr42_sgpr43
                                        ; implicit-def: $sgpr44_sgpr45
	s_branch .LBB3_6
.LBB3_5:                                ;   in Loop: Header=BB3_6 Depth=1
	s_or_b64 exec, exec, s[14:15]
	s_and_b64 s[14:15], exec, s[18:19]
	s_or_b64 s[40:41], s[14:15], s[40:41]
	s_andn2_b64 s[14:15], s[42:43], exec
	s_and_b64 s[18:19], s[44:45], exec
	s_or_b64 s[42:43], s[14:15], s[18:19]
	s_andn2_b64 exec, exec, s[40:41]
	s_cbranch_execz .LBB3_24
.LBB3_6:                                ; =>This Loop Header: Depth=1
                                        ;     Child Loop BB3_9 Depth 2
                                        ;       Child Loop BB3_10 Depth 3
	v_mov_b32_e32 v2, -1.0
	v_mov_b32_e32 v1, 0
	s_and_saveexec_b64 s[46:47], s[6:7]
	s_cbranch_execz .LBB3_14
; %bb.7:                                ;   in Loop: Header=BB3_6 Depth=1
	s_cmp_lg_u32 s52, 0
	s_cselect_b64 s[14:15], -1, 0
	v_cndmask_b32_e64 v9, 0, 1, s[14:15]
	v_mov_b32_e32 v1, 0
	v_mov_b32_e32 v2, -1.0
	s_mov_b64 s[48:49], 0
	v_cmp_ne_u32_e64 s[14:15], 1, v9
	v_mov_b32_e32 v9, v0
	s_branch .LBB3_9
.LBB3_8:                                ;   in Loop: Header=BB3_9 Depth=2
	s_or_b64 exec, exec, s[50:51]
	v_add_u32_e32 v9, 0x100, v9
	v_cmp_le_i32_e32 vcc, s20, v9
	s_or_b64 s[48:49], vcc, s[48:49]
	s_andn2_b64 exec, exec, s[48:49]
	s_cbranch_execz .LBB3_13
.LBB3_9:                                ;   Parent Loop BB3_6 Depth=1
                                        ; =>  This Loop Header: Depth=2
                                        ;       Child Loop BB3_10 Depth 3
	v_add_u32_e32 v10, s33, v9
	v_ashrrev_i32_e32 v11, 31, v10
	v_lshlrev_b64 v[10:11], 2, v[10:11]
	v_mov_b32_e32 v12, s31
	v_add_co_u32_e32 v10, vcc, s30, v10
	v_addc_co_u32_e32 v11, vcc, v12, v11, vcc
	global_load_dword v10, v[10:11], off
	s_and_b64 vcc, exec, s[14:15]
	v_mov_b32_e32 v11, v9
	s_mov_b64 s[18:19], s[38:39]
	s_mov_b32 s37, s52
	s_cbranch_vccnz .LBB3_11
.LBB3_10:                               ;   Parent Loop BB3_6 Depth=1
                                        ;     Parent Loop BB3_9 Depth=2
                                        ; =>    This Inner Loop Header: Depth=3
	global_load_dword v12, v8, s[18:19]
	s_add_i32 s37, s37, -1
	s_add_u32 s18, s18, 4
	s_addc_u32 s19, s19, 0
	s_cmp_eq_u32 s37, 0
	s_waitcnt vmcnt(0)
	v_cmp_eq_u32_e32 vcc, v12, v9
	v_cndmask_b32_e32 v11, v11, v1, vcc
	v_cndmask_b32_e32 v10, v10, v2, vcc
	s_cbranch_scc0 .LBB3_10
.LBB3_11:                               ;   in Loop: Header=BB3_9 Depth=2
	s_waitcnt vmcnt(0)
	v_cmp_ngt_f32_e32 vcc, v2, v10
	s_and_saveexec_b64 s[50:51], vcc
	s_cbranch_execz .LBB3_8
; %bb.12:                               ;   in Loop: Header=BB3_9 Depth=2
	v_cmp_eq_f32_e32 vcc, v10, v2
	v_cmp_lt_i32_e64 s[18:19], v1, v11
	s_and_b64 vcc, vcc, s[18:19]
	v_cndmask_b32_e32 v2, v10, v2, vcc
	v_cndmask_b32_e32 v1, v11, v1, vcc
	s_branch .LBB3_8
.LBB3_13:                               ;   in Loop: Header=BB3_6 Depth=1
	s_or_b64 exec, exec, s[48:49]
.LBB3_14:                               ;   in Loop: Header=BB3_6 Depth=1
	s_or_b64 exec, exec, s[46:47]
	v_mov_b32_dpp v9, v1 quad_perm:[1,0,3,2] row_mask:0xf bank_mask:0xf bound_ctrl:1
	v_mov_b32_dpp v10, v2 quad_perm:[1,0,3,2] row_mask:0xf bank_mask:0xf bound_ctrl:1
	v_cmp_eq_f32_e32 vcc, v2, v10
	v_cmp_lt_i32_e64 s[14:15], v1, v9
	s_and_b64 vcc, vcc, s[14:15]
	v_cmp_gt_f32_e64 s[14:15], v2, v10
	v_cndmask_b32_e32 v11, v10, v2, vcc
	s_or_b64 vcc, s[14:15], vcc
	v_cndmask_b32_e64 v2, v11, v2, s[14:15]
	v_cndmask_b32_e32 v1, v9, v1, vcc
	s_nop 0
	v_mov_b32_dpp v10, v2 quad_perm:[2,3,0,1] row_mask:0xf bank_mask:0xf bound_ctrl:1
	v_mov_b32_dpp v9, v1 quad_perm:[2,3,0,1] row_mask:0xf bank_mask:0xf bound_ctrl:1
	v_cmp_eq_f32_e32 vcc, v2, v10
	v_cmp_lt_i32_e64 s[14:15], v1, v9
	s_and_b64 vcc, vcc, s[14:15]
	v_cmp_gt_f32_e64 s[14:15], v2, v10
	v_cndmask_b32_e32 v11, v10, v2, vcc
	s_or_b64 vcc, s[14:15], vcc
	v_cndmask_b32_e64 v2, v11, v2, s[14:15]
	v_cndmask_b32_e32 v1, v9, v1, vcc
	s_nop 0
	v_mov_b32_dpp v10, v2 row_ror:4 row_mask:0xf bank_mask:0xf bound_ctrl:1
	v_mov_b32_dpp v9, v1 row_ror:4 row_mask:0xf bank_mask:0xf bound_ctrl:1
	v_cmp_eq_f32_e32 vcc, v2, v10
	v_cmp_lt_i32_e64 s[14:15], v1, v9
	s_and_b64 vcc, vcc, s[14:15]
	v_cmp_gt_f32_e64 s[14:15], v2, v10
	v_cndmask_b32_e32 v11, v10, v2, vcc
	s_or_b64 vcc, s[14:15], vcc
	v_cndmask_b32_e64 v2, v11, v2, s[14:15]
	v_cndmask_b32_e32 v1, v9, v1, vcc
	s_nop 0
	v_mov_b32_dpp v10, v2 row_ror:8 row_mask:0xf bank_mask:0xf bound_ctrl:1
	v_mov_b32_dpp v9, v1 row_ror:8 row_mask:0xf bank_mask:0xf bound_ctrl:1
	v_cmp_eq_f32_e32 vcc, v2, v10
	v_cmp_lt_i32_e64 s[14:15], v1, v9
	s_and_b64 vcc, vcc, s[14:15]
	v_cmp_gt_f32_e64 s[14:15], v2, v10
	v_cndmask_b32_e32 v11, v10, v2, vcc
	s_or_b64 vcc, s[14:15], vcc
	v_cndmask_b32_e64 v2, v11, v2, s[14:15]
	v_cndmask_b32_e32 v1, v9, v1, vcc
	s_nop 0
	v_mov_b32_dpp v10, v2 row_bcast:15 row_mask:0xf bank_mask:0xf bound_ctrl:1
	v_mov_b32_dpp v9, v1 row_bcast:15 row_mask:0xf bank_mask:0xf bound_ctrl:1
	v_cmp_eq_f32_e32 vcc, v2, v10
	v_cmp_lt_i32_e64 s[14:15], v1, v9
	s_and_b64 vcc, vcc, s[14:15]
	v_cmp_gt_f32_e64 s[14:15], v2, v10
	v_cndmask_b32_e32 v11, v10, v2, vcc
	s_or_b64 vcc, s[14:15], vcc
	v_cndmask_b32_e64 v2, v11, v2, s[14:15]
	v_cndmask_b32_e32 v1, v9, v1, vcc
	s_nop 0
	v_mov_b32_dpp v10, v2 row_bcast:31 row_mask:0xf bank_mask:0xf bound_ctrl:1
	v_mov_b32_dpp v9, v1 row_bcast:31 row_mask:0xf bank_mask:0xf bound_ctrl:1
	v_cmp_eq_f32_e64 s[14:15], v2, v10
	v_cmp_lt_i32_e64 s[18:19], v1, v9
	v_cmp_gt_f32_e32 vcc, v2, v10
	s_and_b64 s[14:15], s[14:15], s[18:19]
	s_or_b64 vcc, vcc, s[14:15]
	v_cndmask_b32_e32 v2, v10, v2, vcc
	v_cndmask_b32_e32 v1, v9, v1, vcc
	ds_bpermute_b32 v1, v3, v1
	ds_bpermute_b32 v2, v3, v2
	s_and_saveexec_b64 s[14:15], s[16:17]
	s_cbranch_execz .LBB3_16
; %bb.15:                               ;   in Loop: Header=BB3_6 Depth=1
	s_waitcnt lgkmcnt(0)
	ds_write_b64 v4, v[1:2]
.LBB3_16:                               ;   in Loop: Header=BB3_6 Depth=1
	s_or_b64 exec, exec, s[14:15]
	s_waitcnt vmcnt(0) lgkmcnt(0)
	s_barrier
	s_and_saveexec_b64 s[46:47], s[10:11]
	s_cbranch_execz .LBB3_18
; %bb.17:                               ;   in Loop: Header=BB3_6 Depth=1
	ds_read_b64 v[1:2], v5
	s_waitcnt lgkmcnt(0)
	ds_bpermute_b32 v9, v6, v2
	ds_bpermute_b32 v10, v6, v1
	s_waitcnt lgkmcnt(1)
	v_cmp_eq_f32_e32 vcc, v2, v9
	s_waitcnt lgkmcnt(0)
	v_cmp_lt_i32_e64 s[14:15], v10, v1
	s_and_b64 vcc, vcc, s[14:15]
	v_cmp_lt_f32_e64 s[14:15], v2, v9
	v_cndmask_b32_e32 v11, v2, v9, vcc
	s_or_b64 vcc, s[14:15], vcc
	v_cndmask_b32_e64 v2, v11, v9, s[14:15]
	v_cndmask_b32_e32 v1, v1, v10, vcc
	ds_bpermute_b32 v9, v7, v2
	ds_bpermute_b32 v10, v7, v1
	s_waitcnt lgkmcnt(1)
	v_cmp_eq_f32_e64 s[14:15], v2, v9
	s_waitcnt lgkmcnt(0)
	v_cmp_lt_i32_e64 s[18:19], v10, v1
	v_cmp_lt_f32_e32 vcc, v2, v9
	s_and_b64 s[14:15], s[14:15], s[18:19]
	s_or_b64 vcc, vcc, s[14:15]
	v_cndmask_b32_e32 v2, v2, v9, vcc
	v_cndmask_b32_e32 v1, v1, v10, vcc
.LBB3_18:                               ;   in Loop: Header=BB3_6 Depth=1
	s_or_b64 exec, exec, s[46:47]
	s_mov_b64 s[18:19], -1
	s_mov_b64 s[48:49], -1
	s_and_saveexec_b64 s[46:47], s[12:13]
	s_cbranch_execz .LBB3_22
; %bb.19:                               ;   in Loop: Header=BB3_6 Depth=1
	v_cmp_le_i32_e32 vcc, s22, v1
	v_cmp_gt_i32_e64 s[14:15], s23, v1
	s_and_b64 s[14:15], vcc, s[14:15]
	s_and_b64 vcc, s[28:29], s[14:15]
	s_add_i32 s14, s52, s36
	s_ashr_i32 s15, s14, 31
	s_lshl_b64 s[14:15], s[14:15], 2
	s_add_u32 s48, s24, s14
	s_addc_u32 s49, s25, s15
	v_subrev_u32_e32 v1, s22, v1
	v_mov_b32_e32 v9, s20
	global_store_dword v8, v2, s[48:49]
	s_add_u32 s48, s26, s14
	v_cndmask_b32_e32 v1, v9, v1, vcc
	s_addc_u32 s49, s27, s15
	global_store_dword v8, v1, s[48:49]
	v_cmp_lt_i32_e32 vcc, -1, v1
	s_mov_b64 s[48:49], 0
	s_and_saveexec_b64 s[50:51], vcc
	s_cbranch_execz .LBB3_21
; %bb.20:                               ;   in Loop: Header=BB3_6 Depth=1
	s_mul_i32 s37, s52, s9
	s_add_i32 s37, s37, s8
	s_add_u32 s14, s34, s14
	s_mov_b64 s[48:49], exec
	s_addc_u32 s15, s35, s15
	v_mov_b32_e32 v1, s37
	global_store_dword v8, v1, s[14:15]
.LBB3_21:                               ;   in Loop: Header=BB3_6 Depth=1
	s_or_b64 exec, exec, s[50:51]
	s_orn2_b64 s[48:49], s[48:49], exec
.LBB3_22:                               ;   in Loop: Header=BB3_6 Depth=1
	s_or_b64 exec, exec, s[46:47]
	s_or_b64 s[44:45], s[44:45], exec
	s_and_saveexec_b64 s[14:15], s[48:49]
	s_cbranch_execz .LBB3_5
; %bb.23:                               ;   in Loop: Header=BB3_6 Depth=1
	s_add_i32 s52, s52, 1
	s_cmp_eq_u32 s52, s21
	s_cselect_b64 s[18:19], -1, 0
	s_andn2_b64 s[44:45], s[44:45], exec
	s_orn2_b64 s[18:19], s[18:19], exec
	s_waitcnt vmcnt(0)
	s_barrier
	s_branch .LBB3_5
.LBB3_24:
	s_or_b64 exec, exec, s[40:41]
	s_and_saveexec_b64 s[6:7], s[42:43]
	s_xor_b64 s[6:7], exec, s[6:7]
	s_cbranch_execz .LBB3_2
; %bb.25:
	s_add_u32 s8, s4, 56
	s_addc_u32 s9, s5, 0
	s_getpc_b64 s[4:5]
	s_add_u32 s4, s4, __assert_fail@rel32@lo+4
	s_addc_u32 s5, s5, __assert_fail@rel32@hi+12
	s_swappc_b64 s[30:31], s[4:5]
	; divergent unreachable
	s_endpgm
	.section	.rodata,"a",@progbits
	.p2align	6, 0x0
	.amdhsa_kernel _Z7moeTopKILi256EEvPKfPKbPfPiS5_iiii
		.amdhsa_group_segment_fixed_size 32
		.amdhsa_private_segment_fixed_size 64
		.amdhsa_kernarg_size 312
		.amdhsa_user_sgpr_count 8
		.amdhsa_user_sgpr_private_segment_buffer 1
		.amdhsa_user_sgpr_dispatch_ptr 0
		.amdhsa_user_sgpr_queue_ptr 0
		.amdhsa_user_sgpr_kernarg_segment_ptr 1
		.amdhsa_user_sgpr_dispatch_id 0
		.amdhsa_user_sgpr_flat_scratch_init 1
		.amdhsa_user_sgpr_private_segment_size 0
		.amdhsa_uses_dynamic_stack 0
		.amdhsa_system_sgpr_private_segment_wavefront_offset 1
		.amdhsa_system_sgpr_workgroup_id_x 1
		.amdhsa_system_sgpr_workgroup_id_y 0
		.amdhsa_system_sgpr_workgroup_id_z 0
		.amdhsa_system_sgpr_workgroup_info 0
		.amdhsa_system_vgpr_workitem_id 0
		.amdhsa_next_free_vgpr 41
		.amdhsa_next_free_sgpr 53
		.amdhsa_reserve_vcc 1
		.amdhsa_reserve_flat_scratch 1
		.amdhsa_float_round_mode_32 0
		.amdhsa_float_round_mode_16_64 0
		.amdhsa_float_denorm_mode_32 3
		.amdhsa_float_denorm_mode_16_64 3
		.amdhsa_dx10_clamp 1
		.amdhsa_ieee_mode 1
		.amdhsa_fp16_overflow 0
		.amdhsa_exception_fp_ieee_invalid_op 0
		.amdhsa_exception_fp_denorm_src 0
		.amdhsa_exception_fp_ieee_div_zero 0
		.amdhsa_exception_fp_ieee_overflow 0
		.amdhsa_exception_fp_ieee_underflow 0
		.amdhsa_exception_fp_ieee_inexact 0
		.amdhsa_exception_int_div_zero 0
	.end_amdhsa_kernel
	.section	.text._Z7moeTopKILi256EEvPKfPKbPfPiS5_iiii,"axG",@progbits,_Z7moeTopKILi256EEvPKfPKbPfPiS5_iiii,comdat
.Lfunc_end3:
	.size	_Z7moeTopKILi256EEvPKfPKbPfPiS5_iiii, .Lfunc_end3-_Z7moeTopKILi256EEvPKfPKbPfPiS5_iiii
                                        ; -- End function
	.set _Z7moeTopKILi256EEvPKfPKbPfPiS5_iiii.num_vgpr, max(13, .L__assert_fail.num_vgpr)
	.set _Z7moeTopKILi256EEvPKfPKbPfPiS5_iiii.num_agpr, max(0, .L__assert_fail.num_agpr)
	.set _Z7moeTopKILi256EEvPKfPKbPfPiS5_iiii.numbered_sgpr, max(53, .L__assert_fail.numbered_sgpr)
	.set _Z7moeTopKILi256EEvPKfPKbPfPiS5_iiii.num_named_barrier, max(0, .L__assert_fail.num_named_barrier)
	.set _Z7moeTopKILi256EEvPKfPKbPfPiS5_iiii.private_seg_size, 0+max(.L__assert_fail.private_seg_size)
	.set _Z7moeTopKILi256EEvPKfPKbPfPiS5_iiii.uses_vcc, or(1, .L__assert_fail.uses_vcc)
	.set _Z7moeTopKILi256EEvPKfPKbPfPiS5_iiii.uses_flat_scratch, or(1, .L__assert_fail.uses_flat_scratch)
	.set _Z7moeTopKILi256EEvPKfPKbPfPiS5_iiii.has_dyn_sized_stack, or(0, .L__assert_fail.has_dyn_sized_stack)
	.set _Z7moeTopKILi256EEvPKfPKbPfPiS5_iiii.has_recursion, or(0, .L__assert_fail.has_recursion)
	.set _Z7moeTopKILi256EEvPKfPKbPfPiS5_iiii.has_indirect_call, or(0, .L__assert_fail.has_indirect_call)
	.section	.AMDGPU.csdata,"",@progbits
; Kernel info:
; codeLenInByte = 1396
; TotalNumSgprs: 59
; NumVgprs: 41
; ScratchSize: 64
; MemoryBound: 0
; FloatMode: 240
; IeeeMode: 1
; LDSByteSize: 32 bytes/workgroup (compile time only)
; SGPRBlocks: 7
; VGPRBlocks: 10
; NumSGPRsForWavesPerEU: 59
; NumVGPRsForWavesPerEU: 41
; Occupancy: 5
; WaveLimiterHint : 1
; COMPUTE_PGM_RSRC2:SCRATCH_EN: 1
; COMPUTE_PGM_RSRC2:USER_SGPR: 8
; COMPUTE_PGM_RSRC2:TRAP_HANDLER: 0
; COMPUTE_PGM_RSRC2:TGID_X_EN: 1
; COMPUTE_PGM_RSRC2:TGID_Y_EN: 0
; COMPUTE_PGM_RSRC2:TGID_Z_EN: 0
; COMPUTE_PGM_RSRC2:TIDIG_COMP_CNT: 0
	.section	.AMDGPU.gpr_maximums,"",@progbits
	.set amdgpu.max_num_vgpr, 41
	.set amdgpu.max_num_agpr, 0
	.set amdgpu.max_num_sgpr, 34
	.section	.AMDGPU.csdata,"",@progbits
	.type	__const.__assert_fail.fmt,@object ; @__const.__assert_fail.fmt
	.section	.rodata.str1.16,"aMS",@progbits,1
	.p2align	4, 0x0
__const.__assert_fail.fmt:
	.asciz	"%s:%u: %s: Device-side assertion `%s' failed.\n"
	.size	__const.__assert_fail.fmt, 47

	.type	.str.3,@object                  ; @.str.3
	.section	.rodata.str1.1,"aMS",@progbits,1
.str.3:
	.asciz	"indices[idx] >= 0"
	.size	.str.3, 18

	.type	.str.4,@object                  ; @.str.4
.str.4:
	.asciz	"/root/src/amdgpu-assembly/repos/zjin-lcf__HeCBench/src/moe-hip/kernels.h"
	.size	.str.4, 73

	.type	__PRETTY_FUNCTION__._Z7moeTopKILi256EEvPKfPKbPfPiS5_iiii,@object ; @__PRETTY_FUNCTION__._Z7moeTopKILi256EEvPKfPKbPfPiS5_iiii
__PRETTY_FUNCTION__._Z7moeTopKILi256EEvPKfPKbPfPiS5_iiii:
	.asciz	"void moeTopK(const float *__restrict, const bool *__restrict, float *__restrict, int *__restrict, int *__restrict, const int, const int, const int, const int) [TPB = 256]"
	.size	__PRETTY_FUNCTION__._Z7moeTopKILi256EEvPKfPKbPfPiS5_iiii, 171

	.type	__hip_cuid_2b2b468ddaac72dc,@object ; @__hip_cuid_2b2b468ddaac72dc
	.section	.bss,"aw",@nobits
	.globl	__hip_cuid_2b2b468ddaac72dc
__hip_cuid_2b2b468ddaac72dc:
	.byte	0                               ; 0x0
	.size	__hip_cuid_2b2b468ddaac72dc, 1

	.ident	"AMD clang version 22.0.0git (https://github.com/RadeonOpenCompute/llvm-project roc-7.2.4 26084 f58b06dce1f9c15707c5f808fd002e18c2accf7e)"
	.section	".note.GNU-stack","",@progbits
	.addrsig
	.addrsig_sym __hip_cuid_2b2b468ddaac72dc
	.amdgpu_metadata
---
amdhsa.kernels:
  - .args:
      - .actual_access:  read_only
        .address_space:  global
        .offset:         0
        .size:           8
        .value_kind:     global_buffer
      - .actual_access:  read_only
        .address_space:  global
        .offset:         8
        .size:           8
        .value_kind:     global_buffer
      - .address_space:  global
        .offset:         16
        .size:           8
        .value_kind:     global_buffer
      - .offset:         24
        .size:           4
        .value_kind:     by_value
    .group_segment_fixed_size: 24
    .kernarg_segment_align: 8
    .kernarg_segment_size: 28
    .language:       OpenCL C
    .language_version:
      - 2
      - 0
    .max_flat_workgroup_size: 1024
    .name:           _Z10moeSoftmaxILi256EEvPKfPKbPfi
    .private_segment_fixed_size: 0
    .sgpr_count:     24
    .sgpr_spill_count: 0
    .symbol:         _Z10moeSoftmaxILi256EEvPKfPKbPfi.kd
    .uniform_work_group_size: 1
    .uses_dynamic_stack: false
    .vgpr_count:     18
    .vgpr_spill_count: 0
    .wavefront_size: 64
  - .args:
      - .actual_access:  read_only
        .address_space:  global
        .offset:         0
        .size:           8
        .value_kind:     global_buffer
      - .actual_access:  read_only
        .address_space:  global
        .offset:         8
        .size:           8
        .value_kind:     global_buffer
      - .actual_access:  write_only
        .address_space:  global
        .offset:         16
        .size:           8
        .value_kind:     global_buffer
      - .address_space:  global
        .offset:         24
        .size:           8
        .value_kind:     global_buffer
      - .actual_access:  write_only
        .address_space:  global
        .offset:         32
        .size:           8
        .value_kind:     global_buffer
      - .offset:         40
        .size:           4
        .value_kind:     by_value
      - .offset:         44
        .size:           4
        .value_kind:     by_value
      - .offset:         48
        .size:           4
        .value_kind:     by_value
      - .offset:         52
        .size:           4
        .value_kind:     by_value
      - .offset:         56
        .size:           4
        .value_kind:     hidden_block_count_x
      - .offset:         60
        .size:           4
        .value_kind:     hidden_block_count_y
      - .offset:         64
        .size:           4
        .value_kind:     hidden_block_count_z
      - .offset:         68
        .size:           2
        .value_kind:     hidden_group_size_x
      - .offset:         70
        .size:           2
        .value_kind:     hidden_group_size_y
      - .offset:         72
        .size:           2
        .value_kind:     hidden_group_size_z
      - .offset:         74
        .size:           2
        .value_kind:     hidden_remainder_x
      - .offset:         76
        .size:           2
        .value_kind:     hidden_remainder_y
      - .offset:         78
        .size:           2
        .value_kind:     hidden_remainder_z
      - .offset:         96
        .size:           8
        .value_kind:     hidden_global_offset_x
      - .offset:         104
        .size:           8
        .value_kind:     hidden_global_offset_y
      - .offset:         112
        .size:           8
        .value_kind:     hidden_global_offset_z
      - .offset:         120
        .size:           2
        .value_kind:     hidden_grid_dims
      - .offset:         136
        .size:           8
        .value_kind:     hidden_hostcall_buffer
    .group_segment_fixed_size: 32
    .kernarg_segment_align: 8
    .kernarg_segment_size: 312
    .language:       OpenCL C
    .language_version:
      - 2
      - 0
    .max_flat_workgroup_size: 1024
    .name:           _Z7moeTopKILi256EEvPKfPKbPfPiS5_iiii
    .private_segment_fixed_size: 64
    .sgpr_count:     59
    .sgpr_spill_count: 0
    .symbol:         _Z7moeTopKILi256EEvPKfPKbPfPiS5_iiii.kd
    .uniform_work_group_size: 1
    .uses_dynamic_stack: false
    .vgpr_count:     41
    .vgpr_spill_count: 0
    .wavefront_size: 64
amdhsa.target:   amdgcn-amd-amdhsa--gfx906
amdhsa.version:
  - 1
  - 2
...

	.end_amdgpu_metadata
